;; amdgpu-corpus repo=ROCm/rocFFT kind=compiled arch=gfx950 opt=O3
	.text
	.amdgcn_target "amdgcn-amd-amdhsa--gfx950"
	.amdhsa_code_object_version 6
	.protected	bluestein_single_back_len390_dim1_half_op_CI_CI ; -- Begin function bluestein_single_back_len390_dim1_half_op_CI_CI
	.globl	bluestein_single_back_len390_dim1_half_op_CI_CI
	.p2align	8
	.type	bluestein_single_back_len390_dim1_half_op_CI_CI,@function
bluestein_single_back_len390_dim1_half_op_CI_CI: ; @bluestein_single_back_len390_dim1_half_op_CI_CI
; %bb.0:
	s_load_dwordx4 s[8:11], s[0:1], 0x28
	v_mul_u32_u24_e32 v1, 0x691, v0
	v_lshrrev_b32_e32 v2, 16, v1
	v_mad_u64_u32 v[10:11], s[2:3], s2, 3, v[2:3]
	v_mov_b32_e32 v11, 0
	s_waitcnt lgkmcnt(0)
	v_cmp_gt_u64_e32 vcc, s[8:9], v[10:11]
	s_and_saveexec_b64 s[2:3], vcc
	s_cbranch_execz .LBB0_23
; %bb.1:
	v_mul_lo_u16_e32 v1, 39, v2
	s_mov_b32 s4, 0xaaaaaaab
	v_sub_u16_e32 v8, v0, v1
	v_mul_hi_u32 v0, v10, s4
	s_load_dwordx2 s[12:13], s[0:1], 0x0
	s_load_dwordx2 s[2:3], s[0:1], 0x38
	v_lshrrev_b32_e32 v0, 1, v0
	v_lshl_add_u32 v0, v0, 1, v0
	v_sub_u32_e32 v0, v10, v0
	v_mul_u32_u24_e32 v24, 0x186, v0
	v_cmp_gt_u16_e32 vcc, 30, v8
	v_lshlrev_b32_e32 v9, 2, v8
	v_lshlrev_b32_e32 v11, 2, v24
	s_and_saveexec_b64 s[8:9], vcc
	s_cbranch_execz .LBB0_3
; %bb.2:
	s_load_dwordx2 s[4:5], s[0:1], 0x18
	v_mov_b32_e32 v0, s10
	v_mov_b32_e32 v1, s11
	v_lshl_add_u32 v30, v8, 2, v11
	v_add_u32_e32 v31, v11, v9
	s_waitcnt lgkmcnt(0)
	s_load_dwordx4 s[4:7], s[4:5], 0x0
	s_waitcnt lgkmcnt(0)
	v_mad_u64_u32 v[2:3], s[10:11], s6, v10, 0
	v_mad_u64_u32 v[4:5], s[10:11], s4, v8, 0
	v_mov_b32_e32 v6, v3
	v_mov_b32_e32 v12, v5
	v_mad_u64_u32 v[6:7], s[6:7], s7, v10, v[6:7]
	v_mov_b32_e32 v3, v6
	v_mad_u64_u32 v[6:7], s[6:7], s5, v8, v[12:13]
	v_mov_b32_e32 v5, v6
	v_lshl_add_u64 v[0:1], v[2:3], 2, v[0:1]
	v_lshl_add_u64 v[0:1], v[4:5], 2, v[0:1]
	global_load_dword v2, v[0:1], off
	v_mov_b32_e32 v3, 0x78
	global_load_dword v4, v9, s[12:13]
	v_mad_u64_u32 v[0:1], s[6:7], s4, v3, v[0:1]
	s_mul_i32 s10, s5, 0x78
	v_add_u32_e32 v1, s10, v1
	global_load_dword v5, v[0:1], off
	global_load_dword v6, v9, s[12:13] offset:120
	v_mad_u64_u32 v[0:1], s[6:7], s4, v3, v[0:1]
	v_add_u32_e32 v1, s10, v1
	global_load_dword v7, v[0:1], off
	global_load_dword v12, v9, s[12:13] offset:240
	v_mad_u64_u32 v[0:1], s[6:7], s4, v3, v[0:1]
	;; [unrolled: 4-line block ×10, first 2 shown]
	v_add_u32_e32 v1, s10, v1
	global_load_dword v32, v[0:1], off
	global_load_dword v33, v9, s[12:13] offset:1320
	global_load_dword v34, v9, s[12:13] offset:1440
	v_mad_u64_u32 v[0:1], s[4:5], s4, v3, v[0:1]
	v_add_u32_e32 v1, s10, v1
	global_load_dword v0, v[0:1], off
	s_waitcnt vmcnt(25)
	v_lshrrev_b32_e32 v1, 16, v2
	s_waitcnt vmcnt(24)
	v_mul_f16_sdwa v3, v4, v2 dst_sel:DWORD dst_unused:UNUSED_PAD src0_sel:WORD_1 src1_sel:DWORD
	v_mul_f16_sdwa v35, v4, v1 dst_sel:DWORD dst_unused:UNUSED_PAD src0_sel:WORD_1 src1_sel:DWORD
	v_fma_f16 v1, v4, v1, -v3
	v_fma_f16 v2, v4, v2, v35
	s_waitcnt vmcnt(23)
	v_lshrrev_b32_e32 v3, 16, v5
	s_waitcnt vmcnt(22)
	v_mul_f16_sdwa v4, v6, v5 dst_sel:DWORD dst_unused:UNUSED_PAD src0_sel:WORD_1 src1_sel:DWORD
	v_pack_b32_f16 v1, v2, v1
	v_mul_f16_sdwa v2, v6, v3 dst_sel:DWORD dst_unused:UNUSED_PAD src0_sel:WORD_1 src1_sel:DWORD
	v_fma_f16 v3, v6, v3, -v4
	ds_write_b32 v30, v1
	v_fma_f16 v1, v6, v5, v2
	s_waitcnt vmcnt(21)
	v_lshrrev_b32_e32 v2, 16, v7
	s_waitcnt vmcnt(20)
	v_mul_f16_sdwa v4, v12, v7 dst_sel:DWORD dst_unused:UNUSED_PAD src0_sel:WORD_1 src1_sel:DWORD
	v_pack_b32_f16 v1, v1, v3
	v_mul_f16_sdwa v3, v12, v2 dst_sel:DWORD dst_unused:UNUSED_PAD src0_sel:WORD_1 src1_sel:DWORD
	v_fma_f16 v2, v12, v2, -v4
	v_fma_f16 v3, v12, v7, v3
	s_waitcnt vmcnt(19)
	v_lshrrev_b32_e32 v4, 16, v13
	v_pack_b32_f16 v2, v3, v2
	ds_write2_b32 v31, v1, v2 offset0:30 offset1:60
	s_waitcnt vmcnt(18)
	v_mul_f16_sdwa v1, v14, v4 dst_sel:DWORD dst_unused:UNUSED_PAD src0_sel:WORD_1 src1_sel:DWORD
	v_mul_f16_sdwa v2, v14, v13 dst_sel:DWORD dst_unused:UNUSED_PAD src0_sel:WORD_1 src1_sel:DWORD
	v_fma_f16 v1, v14, v13, v1
	v_fma_f16 v2, v14, v4, -v2
	v_pack_b32_f16 v1, v1, v2
	s_waitcnt vmcnt(17)
	v_lshrrev_b32_e32 v2, 16, v15
	s_waitcnt vmcnt(16)
	v_mul_f16_sdwa v3, v16, v2 dst_sel:DWORD dst_unused:UNUSED_PAD src0_sel:WORD_1 src1_sel:DWORD
	v_mul_f16_sdwa v4, v16, v15 dst_sel:DWORD dst_unused:UNUSED_PAD src0_sel:WORD_1 src1_sel:DWORD
	v_fma_f16 v3, v16, v15, v3
	v_fma_f16 v2, v16, v2, -v4
	v_pack_b32_f16 v2, v3, v2
	ds_write2_b32 v31, v1, v2 offset0:90 offset1:120
	s_waitcnt vmcnt(15)
	v_lshrrev_b32_e32 v1, 16, v17
	s_waitcnt vmcnt(14)
	v_mul_f16_sdwa v2, v18, v1 dst_sel:DWORD dst_unused:UNUSED_PAD src0_sel:WORD_1 src1_sel:DWORD
	v_mul_f16_sdwa v3, v18, v17 dst_sel:DWORD dst_unused:UNUSED_PAD src0_sel:WORD_1 src1_sel:DWORD
	v_fma_f16 v2, v18, v17, v2
	v_fma_f16 v1, v18, v1, -v3
	v_pack_b32_f16 v1, v2, v1
	s_waitcnt vmcnt(13)
	v_lshrrev_b32_e32 v2, 16, v19
	s_waitcnt vmcnt(12)
	v_mul_f16_sdwa v3, v20, v2 dst_sel:DWORD dst_unused:UNUSED_PAD src0_sel:WORD_1 src1_sel:DWORD
	v_mul_f16_sdwa v4, v20, v19 dst_sel:DWORD dst_unused:UNUSED_PAD src0_sel:WORD_1 src1_sel:DWORD
	v_fma_f16 v3, v20, v19, v3
	v_fma_f16 v2, v20, v2, -v4
	v_pack_b32_f16 v2, v3, v2
	ds_write2_b32 v31, v1, v2 offset0:150 offset1:180
	s_waitcnt vmcnt(11)
	v_lshrrev_b32_e32 v1, 16, v21
	s_waitcnt vmcnt(10)
	v_mul_f16_sdwa v2, v22, v1 dst_sel:DWORD dst_unused:UNUSED_PAD src0_sel:WORD_1 src1_sel:DWORD
	v_mul_f16_sdwa v3, v22, v21 dst_sel:DWORD dst_unused:UNUSED_PAD src0_sel:WORD_1 src1_sel:DWORD
	v_fma_f16 v2, v22, v21, v2
	v_fma_f16 v1, v22, v1, -v3
	v_pack_b32_f16 v1, v2, v1
	s_waitcnt vmcnt(9)
	v_lshrrev_b32_e32 v2, 16, v23
	s_waitcnt vmcnt(8)
	v_mul_f16_sdwa v3, v25, v2 dst_sel:DWORD dst_unused:UNUSED_PAD src0_sel:WORD_1 src1_sel:DWORD
	v_mul_f16_sdwa v4, v25, v23 dst_sel:DWORD dst_unused:UNUSED_PAD src0_sel:WORD_1 src1_sel:DWORD
	v_fma_f16 v3, v25, v23, v3
	v_fma_f16 v2, v25, v2, -v4
	v_pack_b32_f16 v2, v3, v2
	ds_write2_b32 v31, v1, v2 offset0:210 offset1:240
	s_waitcnt vmcnt(7)
	v_lshrrev_b32_e32 v1, 16, v26
	s_waitcnt vmcnt(6)
	v_mul_f16_sdwa v2, v27, v1 dst_sel:DWORD dst_unused:UNUSED_PAD src0_sel:WORD_1 src1_sel:DWORD
	v_mul_f16_sdwa v3, v27, v26 dst_sel:DWORD dst_unused:UNUSED_PAD src0_sel:WORD_1 src1_sel:DWORD
	v_fma_f16 v2, v27, v26, v2
	v_fma_f16 v1, v27, v1, -v3
	v_pack_b32_f16 v1, v2, v1
	s_waitcnt vmcnt(5)
	v_lshrrev_b32_e32 v2, 16, v28
	s_waitcnt vmcnt(4)
	v_mul_f16_sdwa v3, v29, v2 dst_sel:DWORD dst_unused:UNUSED_PAD src0_sel:WORD_1 src1_sel:DWORD
	v_mul_f16_sdwa v4, v29, v28 dst_sel:DWORD dst_unused:UNUSED_PAD src0_sel:WORD_1 src1_sel:DWORD
	v_fma_f16 v3, v29, v28, v3
	v_fma_f16 v2, v29, v2, -v4
	v_pack_b32_f16 v2, v3, v2
	v_add_u32_e32 v3, 0x400, v31
	ds_write2_b32 v3, v1, v2 offset0:14 offset1:44
	s_waitcnt vmcnt(3)
	v_lshrrev_b32_e32 v1, 16, v32
	s_waitcnt vmcnt(2)
	v_mul_f16_sdwa v2, v33, v1 dst_sel:DWORD dst_unused:UNUSED_PAD src0_sel:WORD_1 src1_sel:DWORD
	v_mul_f16_sdwa v4, v33, v32 dst_sel:DWORD dst_unused:UNUSED_PAD src0_sel:WORD_1 src1_sel:DWORD
	v_fma_f16 v2, v33, v32, v2
	v_fma_f16 v1, v33, v1, -v4
	v_pack_b32_f16 v1, v2, v1
	s_waitcnt vmcnt(0)
	v_lshrrev_b32_e32 v2, 16, v0
	v_mul_f16_sdwa v4, v34, v2 dst_sel:DWORD dst_unused:UNUSED_PAD src0_sel:WORD_1 src1_sel:DWORD
	v_fma_f16 v4, v34, v0, v4
	v_mul_f16_sdwa v0, v34, v0 dst_sel:DWORD dst_unused:UNUSED_PAD src0_sel:WORD_1 src1_sel:DWORD
	v_fma_f16 v0, v34, v2, -v0
	v_pack_b32_f16 v0, v4, v0
	ds_write2_b32 v3, v1, v0 offset0:74 offset1:104
.LBB0_3:
	s_or_b64 exec, exec, s[8:9]
	v_mov_b32_e32 v0, 0
	s_waitcnt lgkmcnt(0)
	s_barrier
	s_waitcnt lgkmcnt(0)
                                        ; implicit-def: $vgpr5
                                        ; implicit-def: $vgpr21
                                        ; implicit-def: $vgpr16
                                        ; implicit-def: $vgpr27
                                        ; implicit-def: $vgpr28
                                        ; implicit-def: $vgpr18
                                        ; implicit-def: $vgpr29
                                        ; implicit-def: $vgpr30
                                        ; implicit-def: $vgpr32
                                        ; implicit-def: $vgpr31
                                        ; implicit-def: $vgpr12
                                        ; implicit-def: $vgpr15
                                        ; implicit-def: $vgpr20
                                        ; implicit-def: $vgpr22
                                        ; implicit-def: $vgpr7
                                        ; implicit-def: $vgpr23
                                        ; implicit-def: $vgpr25
                                        ; implicit-def: $vgpr26
	s_and_saveexec_b64 s[4:5], vcc
	s_cbranch_execz .LBB0_5
; %bb.4:
	v_lshl_add_u32 v2, v24, 2, v9
	v_add_u32_e32 v3, 0x200, v2
	ds_read2_b32 v[0:1], v2 offset1:30
	ds_read2_b32 v[6:7], v2 offset0:60 offset1:90
	ds_read2_b32 v[14:15], v2 offset0:120 offset1:150
	;; [unrolled: 1-line block ×4, first 2 shown]
	v_add_u32_e32 v3, 0x400, v2
	ds_read2_b32 v[18:19], v3 offset0:44 offset1:74
	ds_read_b32 v32, v2 offset:1440
	s_waitcnt lgkmcnt(6)
	v_lshrrev_b32_e32 v26, 16, v1
	s_waitcnt lgkmcnt(5)
	v_lshrrev_b32_e32 v25, 16, v6
	v_lshrrev_b32_e32 v23, 16, v7
	s_waitcnt lgkmcnt(4)
	v_lshrrev_b32_e32 v22, 16, v14
	;; [unrolled: 3-line block ×6, first 2 shown]
.LBB0_5:
	s_or_b64 exec, exec, s[4:5]
	v_sub_f16_e32 v54, v26, v31
	v_add_f16_e32 v34, v32, v1
	s_movk_i32 s8, 0x3b15
	v_mul_f16_e32 v43, 0xb770, v54
	v_fma_f16 v2, v34, s8, v43
	s_movk_i32 s11, 0x2fb7
	v_mul_f16_e32 v48, 0xbbf1, v54
	v_sub_f16_e32 v62, v25, v30
	v_add_f16_e32 v13, v2, v0
	v_fma_f16 v2, v34, s11, v48
	s_mov_b32 s10, 0xb5ac
	v_mul_f16_e32 v52, 0xbb7b, v54
	v_add_f16_e32 v38, v19, v6
	s_mov_b32 s14, 0xbbc4
	v_mul_f16_e32 v49, 0xb3a8, v62
	v_add_f16_e32 v2, v2, v0
	v_fma_f16 v3, v34, s10, v52
	v_fma_f16 v33, v38, s14, v49
	s_mov_b32 s15, 0xb9fd
	v_mul_f16_e32 v57, 0x394e, v62
	v_sub_f16_e32 v71, v23, v29
	v_add_f16_e32 v3, v3, v0
	v_add_f16_e32 v2, v33, v2
	v_fma_f16 v33, v38, s15, v57
	v_add_f16_e32 v40, v18, v7
	v_mul_f16_e32 v51, 0x3b7b, v71
	v_add_f16_e32 v3, v33, v3
	v_fma_f16 v33, v40, s10, v51
	v_mul_f16_e32 v64, 0x3770, v71
	v_sub_f16_e32 v80, v22, v28
	v_add_f16_e32 v2, v33, v2
	v_fma_f16 v33, v40, s8, v64
	v_add_f16_e32 v44, v17, v14
	v_mul_f16_e32 v55, 0x3770, v80
	v_add_f16_e32 v3, v33, v3
	v_fma_f16 v33, v44, s8, v55
	v_mul_f16_e32 v70, 0xbbf1, v80
	v_sub_f16_e32 v85, v20, v27
	s_movk_i32 s9, 0x388b
	v_add_f16_e32 v2, v33, v2
	v_fma_f16 v33, v44, s11, v70
	v_add_f16_e32 v46, v16, v15
	v_mul_f16_e32 v61, 0xba95, v85
	v_add_f16_e32 v3, v33, v3
	v_fma_f16 v33, v46, s9, v61
	v_mul_f16_e32 v78, 0x33a8, v85
	v_sub_f16_e32 v94, v12, v21
	v_add_f16_e32 v2, v33, v2
	v_fma_f16 v33, v46, s14, v78
	v_add_f16_e32 v47, v5, v4
	v_mul_f16_e32 v69, 0xb94e, v94
	v_add_f16_e32 v33, v33, v3
	v_fma_f16 v3, v47, s15, v69
	v_mul_f16_e32 v84, 0x3a95, v94
	v_sub_f16_e32 v59, v1, v32
	v_add_f16_e32 v3, v3, v2
	v_fma_f16 v2, v47, s9, v84
	v_mul_f16_e32 v58, 0xba95, v62
	v_add_f16_e32 v37, v31, v26
	v_mul_f16_e32 v45, 0xb770, v59
	v_add_f16_e32 v2, v2, v33
	v_fma_f16 v33, v38, s9, v58
	v_sub_f16_e32 v102, v6, v19
	v_add_f16_e32 v13, v33, v13
	v_fma_f16 v33, v37, s8, -v45
	v_add_f16_e32 v50, v30, v25
	v_mul_f16_e32 v63, 0xba95, v102
	v_add_f16_sdwa v33, v33, v0 dst_sel:DWORD dst_unused:UNUSED_PAD src0_sel:DWORD src1_sel:WORD_1
	v_fma_f16 v35, v50, s9, -v63
	v_mul_f16_e32 v67, 0xba95, v54
	v_add_f16_e32 v33, v35, v33
	v_fma_f16 v35, v34, s9, v67
	v_mul_f16_e32 v68, 0xbb7b, v62
	v_add_f16_e32 v35, v35, v0
	v_fma_f16 v36, v38, s10, v68
	v_mul_f16_e32 v74, 0xba95, v59
	v_add_f16_e32 v35, v36, v35
	v_fma_f16 v36, v37, s9, -v74
	v_mul_f16_e32 v75, 0xbb7b, v102
	v_add_f16_sdwa v36, v36, v0 dst_sel:DWORD dst_unused:UNUSED_PAD src0_sel:DWORD src1_sel:WORD_1
	v_fma_f16 v39, v50, s10, -v75
	v_mul_f16_e32 v90, 0xbbf1, v59
	v_add_f16_e32 v36, v39, v36
	v_fma_f16 v39, v37, s11, -v90
	v_mul_f16_e32 v91, 0xb3a8, v102
	v_add_f16_sdwa v39, v39, v0 dst_sel:DWORD dst_unused:UNUSED_PAD src0_sel:DWORD src1_sel:WORD_1
	v_fma_f16 v41, v50, s14, -v91
	;; [unrolled: 6-line block ×3, first 2 shown]
	v_mul_f16_e32 v66, 0xbbf1, v71
	v_sub_f16_e32 v105, v7, v18
	v_add_f16_e32 v41, v42, v41
	v_fma_f16 v42, v40, s11, v66
	v_add_f16_e32 v53, v29, v23
	v_mul_f16_e32 v72, 0xbbf1, v105
	v_add_f16_e32 v13, v42, v13
	v_fma_f16 v42, v53, s11, -v72
	v_mul_f16_e32 v76, 0xb3a8, v71
	v_add_f16_e32 v33, v42, v33
	v_fma_f16 v42, v40, s14, v76
	v_mul_f16_e32 v81, 0xb3a8, v105
	v_add_f16_e32 v35, v42, v35
	v_fma_f16 v42, v53, s14, -v81
	v_mul_f16_e32 v96, 0x3b7b, v105
	v_add_f16_e32 v36, v42, v36
	v_fma_f16 v42, v53, s10, -v96
	v_mul_f16_e32 v103, 0x3770, v105
	v_add_f16_e32 v39, v42, v39
	v_fma_f16 v42, v53, s8, -v103
	v_mul_f16_e32 v73, 0xbb7b, v80
	v_sub_f16_e32 v107, v14, v17
	v_add_f16_e32 v41, v42, v41
	v_fma_f16 v42, v44, s10, v73
	v_add_f16_e32 v56, v28, v22
	v_mul_f16_e32 v77, 0xbb7b, v107
	v_add_f16_e32 v13, v42, v13
	v_fma_f16 v42, v56, s10, -v77
	v_mul_f16_e32 v82, 0x394e, v80
	v_add_f16_e32 v33, v42, v33
	v_fma_f16 v42, v44, s15, v82
	v_mul_f16_e32 v86, 0x394e, v107
	v_add_f16_e32 v35, v42, v35
	v_fma_f16 v42, v56, s15, -v86
	v_mul_f16_e32 v97, 0x3770, v107
	v_add_f16_e32 v36, v42, v36
	v_fma_f16 v42, v56, s8, -v97
	;; [unrolled: 3-line block ×3, first 2 shown]
	v_mul_f16_e32 v79, 0xb94e, v85
	v_sub_f16_e32 v109, v15, v16
	v_add_f16_e32 v41, v42, v41
	v_fma_f16 v42, v46, s15, v79
	v_add_f16_e32 v60, v27, v20
	v_mul_f16_e32 v83, 0xb94e, v109
	v_add_f16_e32 v13, v42, v13
	v_fma_f16 v42, v60, s15, -v83
	v_mul_f16_e32 v87, 0x3bf1, v85
	v_add_f16_e32 v33, v42, v33
	v_fma_f16 v42, v46, s11, v87
	v_mul_f16_e32 v92, 0x3bf1, v109
	v_add_f16_e32 v35, v42, v35
	v_fma_f16 v42, v60, s11, -v92
	v_mul_f16_e32 v98, 0xba95, v109
	v_add_f16_e32 v42, v42, v36
	v_fma_f16 v36, v60, s9, -v98
	v_mul_f16_e32 v106, 0x33a8, v109
	v_sub_f16_e32 v110, v4, v5
	v_add_f16_e32 v89, v36, v39
	v_fma_f16 v36, v60, s14, -v106
	v_add_f16_e32 v65, v21, v12
	v_mul_f16_e32 v88, 0xb3a8, v110
	v_add_f16_e32 v111, v36, v41
	v_fma_f16 v36, v65, s14, -v88
	v_mul_f16_e32 v93, 0x3770, v94
	v_add_f16_e32 v36, v36, v33
	v_fma_f16 v33, v47, s8, v93
	v_mul_f16_e32 v95, 0x3770, v110
	v_add_f16_e32 v39, v33, v35
	v_fma_f16 v33, v65, s8, -v95
	v_mul_f16_e32 v101, 0xb94e, v110
	s_load_dwordx2 s[6:7], s[0:1], 0x20
	s_load_dwordx2 s[4:5], s[0:1], 0x8
	v_add_f16_e32 v41, v33, v42
	v_fma_f16 v33, v65, s15, -v101
	v_add_f16_e32 v42, v33, v89
	v_mul_f16_e32 v108, 0x3a95, v110
	v_mul_f16_e32 v89, 0xb3a8, v94
	v_fma_f16 v33, v65, s9, -v108
	v_fma_f16 v35, v47, s14, v89
	v_add_f16_e32 v33, v33, v111
	v_add_f16_e32 v13, v35, v13
	v_mul_lo_u16_e32 v35, 13, v8
	s_waitcnt lgkmcnt(0)
	s_barrier
	s_and_saveexec_b64 s[0:1], vcc
	s_cbranch_execz .LBB0_7
; %bb.6:
	v_mul_f16_e32 v111, 0xb3a8, v59
	v_fma_f16 v112, v37, s14, v111
	v_mul_f16_e32 v113, 0x3770, v102
	v_add_f16_sdwa v112, v112, v0 dst_sel:DWORD dst_unused:UNUSED_PAD src0_sel:DWORD src1_sel:WORD_1
	v_fma_f16 v114, v50, s8, v113
	v_add_f16_e32 v112, v114, v112
	v_mul_f16_e32 v114, 0xb94e, v105
	v_fma_f16 v115, v53, s15, v114
	v_add_f16_e32 v112, v115, v112
	v_mul_f16_e32 v115, 0x3a95, v107
	;; [unrolled: 3-line block ×5, first 2 shown]
	v_fma_f16 v119, v34, s14, -v118
	v_mul_f16_e32 v120, 0x3770, v62
	v_add_f16_e32 v119, v119, v0
	v_fma_f16 v121, v38, s8, -v120
	v_add_f16_e32 v119, v121, v119
	v_mul_f16_e32 v121, 0xb94e, v71
	v_fma_f16 v122, v40, s15, -v121
	v_add_f16_e32 v119, v122, v119
	v_mul_f16_e32 v122, 0x3a95, v80
	;; [unrolled: 3-line block ×4, first 2 shown]
	v_fma_f16 v125, v47, s11, -v124
	v_mul_f16_e32 v59, 0xb94e, v59
	v_add_f16_e32 v119, v125, v119
	v_fma_f16 v125, v37, s15, v59
	v_mul_f16_e32 v102, 0x3bf1, v102
	v_add_f16_sdwa v125, v125, v0 dst_sel:DWORD dst_unused:UNUSED_PAD src0_sel:DWORD src1_sel:WORD_1
	v_fma_f16 v126, v50, s11, v102
	v_mul_f16_e32 v105, 0xba95, v105
	v_add_f16_e32 v125, v126, v125
	v_fma_f16 v126, v53, s9, v105
	v_mul_f16_e32 v107, 0x33a8, v107
	v_add_f16_e32 v125, v126, v125
	;; [unrolled: 3-line block ×5, first 2 shown]
	v_fma_f16 v126, v34, s15, -v54
	v_mul_f16_e32 v62, 0x3bf1, v62
	v_add_f16_e32 v126, v126, v0
	v_fma_f16 v127, v38, s11, -v62
	v_mul_f16_e32 v71, 0xba95, v71
	v_add_f16_e32 v126, v127, v126
	;; [unrolled: 3-line block ×5, first 2 shown]
	v_fma_f16 v127, v47, s10, -v94
	v_add_f16_e32 v126, v127, v126
	v_mul_f16_e32 v127, 0xb5ac, v37
	v_add_f16_e32 v99, v99, v127
	v_mul_f16_e32 v127, 0xb9fd, v50
	v_add_f16_e32 v100, v100, v127
	v_add_f16_sdwa v99, v99, v0 dst_sel:DWORD dst_unused:UNUSED_PAD src0_sel:DWORD src1_sel:WORD_1
	v_add_f16_e32 v99, v100, v99
	v_mul_f16_e32 v100, 0x3b15, v53
	v_add_f16_e32 v100, v103, v100
	v_add_f16_e32 v99, v100, v99
	v_mul_f16_e32 v100, 0x2fb7, v56
	v_add_f16_e32 v100, v104, v100
	v_add_f16_e32 v99, v100, v99
	v_mul_f16_e32 v100, 0xbbc4, v60
	v_add_f16_e32 v100, v106, v100
	v_add_f16_e32 v99, v100, v99
	v_mul_f16_e32 v100, 0x388b, v65
	v_add_f16_e32 v100, v108, v100
	v_add_f16_e32 v99, v100, v99
	v_mul_f16_e32 v100, 0xb5ac, v34
	v_sub_f16_e32 v52, v100, v52
	v_mul_f16_e32 v100, 0xb9fd, v38
	v_sub_f16_e32 v57, v100, v57
	v_add_f16_e32 v52, v52, v0
	v_add_f16_e32 v52, v57, v52
	v_mul_f16_e32 v57, 0x3b15, v40
	v_sub_f16_e32 v57, v57, v64
	v_mul_f16_e32 v64, 0x2fb7, v37
	v_add_f16_e32 v64, v90, v64
	v_mul_f16_e32 v90, 0xbbc4, v50
	v_add_f16_e32 v90, v91, v90
	v_add_f16_sdwa v64, v64, v0 dst_sel:DWORD dst_unused:UNUSED_PAD src0_sel:DWORD src1_sel:WORD_1
	v_add_f16_e32 v64, v90, v64
	v_mul_f16_e32 v90, 0xb5ac, v53
	v_add_f16_e32 v90, v96, v90
	v_add_f16_e32 v64, v90, v64
	v_mul_f16_e32 v90, 0x3b15, v56
	v_add_f16_e32 v90, v97, v90
	;; [unrolled: 3-line block ×3, first 2 shown]
	v_mul_f16_e32 v100, 0x2fb7, v34
	v_add_f16_e32 v64, v90, v64
	v_mul_f16_e32 v90, 0xb9fd, v65
	v_add_f16_e32 v1, v1, v0
	v_add_f16_e32 v52, v57, v52
	v_mul_f16_e32 v57, 0x2fb7, v44
	v_mul_f16_e32 v91, 0xbbc4, v38
	v_add_f16_e32 v90, v101, v90
	v_sub_f16_e32 v48, v100, v48
	v_add_f16_e32 v1, v6, v1
	v_sub_f16_e32 v57, v57, v70
	v_add_f16_e32 v64, v90, v64
	v_mul_f16_e32 v90, 0xb5ac, v40
	v_sub_f16_e32 v49, v91, v49
	v_add_f16_e32 v48, v48, v0
	v_add_f16_e32 v1, v7, v1
	;; [unrolled: 1-line block ×3, first 2 shown]
	v_mul_f16_e32 v57, 0xbbc4, v46
	v_add_f16_e32 v48, v49, v48
	v_sub_f16_e32 v51, v90, v51
	v_add_f16_e32 v1, v14, v1
	v_sub_f16_e32 v57, v57, v78
	v_add_f16_e32 v48, v51, v48
	v_mul_f16_e32 v51, 0x3b15, v44
	v_add_f16_e32 v1, v15, v1
	v_add_f16_e32 v52, v57, v52
	v_mul_f16_e32 v57, 0x388b, v47
	v_sub_f16_e32 v51, v51, v55
	v_add_f16_e32 v1, v4, v1
	v_mul_f16_e32 v108, 0x388b, v37
	v_sub_f16_e32 v57, v57, v84
	v_add_f16_e32 v48, v51, v48
	v_mul_f16_e32 v51, 0x388b, v46
	v_add_f16_e32 v1, v5, v1
	v_fma_f16 v5, v37, s14, -v111
	v_add_f16_e32 v52, v57, v52
	v_mul_f16_e32 v57, 0xb5ac, v50
	v_sub_f16_e32 v51, v51, v61
	v_add_f16_e32 v74, v74, v108
	v_add_f16_sdwa v5, v5, v0 dst_sel:DWORD dst_unused:UNUSED_PAD src0_sel:DWORD src1_sel:WORD_1
	v_fma_f16 v6, v50, s8, -v113
	v_mul_f16_e32 v101, 0xbbc4, v53
	v_add_f16_e32 v48, v51, v48
	v_mul_f16_e32 v51, 0xb9fd, v47
	v_add_f16_e32 v57, v75, v57
	v_add_f16_sdwa v74, v74, v0 dst_sel:DWORD dst_unused:UNUSED_PAD src0_sel:DWORD src1_sel:WORD_1
	v_add_f16_e32 v5, v6, v5
	v_fma_f16 v6, v53, s15, -v114
	v_mul_f16_e32 v90, 0xb9fd, v56
	v_sub_f16_e32 v51, v51, v69
	v_add_f16_e32 v57, v57, v74
	v_add_f16_e32 v81, v81, v101
	v_add_f16_e32 v5, v6, v5
	v_fma_f16 v6, v56, s9, -v115
	v_add_f16_e32 v48, v51, v48
	v_mul_f16_e32 v51, 0x2fb7, v60
	v_add_f16_e32 v57, v81, v57
	v_add_f16_e32 v81, v86, v90
	;; [unrolled: 1-line block ×3, first 2 shown]
	v_fma_f16 v6, v60, s10, -v116
	v_mul_f16_e32 v101, 0x3b15, v65
	v_add_f16_e32 v57, v81, v57
	v_add_f16_e32 v51, v92, v51
	;; [unrolled: 1-line block ×3, first 2 shown]
	v_fma_f16 v6, v65, s11, -v117
	v_mul_f16_e32 v106, 0x388b, v34
	v_add_f16_e32 v51, v51, v57
	v_add_f16_e32 v57, v95, v101
	;; [unrolled: 1-line block ×3, first 2 shown]
	v_fma_f16 v6, v34, s14, v118
	v_mul_f16_e32 v84, 0xb5ac, v38
	v_add_f16_e32 v51, v57, v51
	v_sub_f16_e32 v57, v106, v67
	v_add_f16_e32 v6, v6, v0
	v_fma_f16 v7, v38, s8, v120
	v_mul_f16_e32 v98, 0xbbc4, v40
	v_add_f16_e32 v57, v57, v0
	v_sub_f16_e32 v67, v84, v68
	v_add_f16_sdwa v4, v26, v0 dst_sel:DWORD dst_unused:UNUSED_PAD src0_sel:DWORD src1_sel:WORD_1
	v_add_f16_e32 v6, v7, v6
	v_fma_f16 v7, v40, s15, v121
	v_mul_f16_e32 v49, 0xb9fd, v44
	v_add_f16_e32 v57, v67, v57
	v_sub_f16_e32 v67, v98, v76
	v_add_f16_e32 v4, v25, v4
	v_add_f16_e32 v6, v7, v6
	v_fma_f16 v7, v44, s9, v122
	v_mul_f16_e32 v69, 0x2fb7, v46
	v_add_f16_e32 v57, v67, v57
	v_sub_f16_e32 v49, v49, v82
	v_add_f16_e32 v4, v23, v4
	v_add_f16_e32 v6, v7, v6
	v_fma_f16 v7, v46, s10, v123
	v_mul_f16_e32 v104, 0x3b15, v37
	v_mul_f16_e32 v74, 0x3b15, v47
	v_add_f16_e32 v49, v49, v57
	v_sub_f16_e32 v57, v69, v87
	v_add_f16_e32 v4, v22, v4
	v_add_f16_e32 v6, v7, v6
	v_fma_f16 v7, v47, s11, v124
	v_mul_f16_e32 v78, 0x388b, v50
	v_add_f16_e32 v49, v57, v49
	v_sub_f16_e32 v57, v74, v93
	v_add_f16_e32 v45, v45, v104
	v_add_f16_e32 v4, v20, v4
	;; [unrolled: 1-line block ×3, first 2 shown]
	v_fma_f16 v7, v37, s15, -v59
	v_mul_f16_e32 v97, 0x2fb7, v53
	v_add_f16_e32 v49, v57, v49
	v_add_f16_sdwa v45, v45, v0 dst_sel:DWORD dst_unused:UNUSED_PAD src0_sel:DWORD src1_sel:WORD_1
	v_add_f16_e32 v57, v63, v78
	v_add_f16_e32 v4, v12, v4
	v_add_f16_sdwa v7, v7, v0 dst_sel:DWORD dst_unused:UNUSED_PAD src0_sel:DWORD src1_sel:WORD_1
	v_fma_f16 v12, v50, s11, -v102
	v_mul_f16_e32 v91, 0xb5ac, v56
	v_add_f16_e32 v45, v57, v45
	v_add_f16_e32 v57, v72, v97
	;; [unrolled: 1-line block ×3, first 2 shown]
	v_fma_f16 v12, v53, s9, -v105
	v_mul_f16_e32 v61, 0xb9fd, v60
	v_add_f16_e32 v45, v57, v45
	v_add_f16_e32 v57, v77, v91
	v_add_f16_e32 v7, v12, v7
	v_fma_f16 v12, v56, s14, -v107
	v_mul_f16_e32 v103, 0x3b15, v34
	v_mul_f16_e32 v75, 0xbbc4, v65
	v_add_f16_e32 v45, v57, v45
	v_add_f16_e32 v57, v83, v61
	;; [unrolled: 1-line block ×3, first 2 shown]
	v_fma_f16 v12, v60, s8, -v109
	v_mul_f16_e32 v70, 0x388b, v38
	v_add_f16_e32 v45, v57, v45
	v_add_f16_e32 v57, v88, v75
	v_sub_f16_e32 v43, v103, v43
	v_add_f16_e32 v7, v12, v7
	v_fma_f16 v12, v65, s10, -v110
	v_mul_f16_e32 v96, 0x2fb7, v40
	v_add_f16_e32 v45, v57, v45
	v_add_f16_e32 v43, v43, v0
	v_sub_f16_e32 v57, v70, v58
	v_add_f16_e32 v4, v21, v4
	v_add_f16_e32 v7, v12, v7
	v_fma_f16 v12, v34, s15, v54
	v_mul_f16_e32 v100, 0xb5ac, v44
	v_add_f16_e32 v43, v57, v43
	v_sub_f16_e32 v57, v96, v66
	v_add_f16_e32 v1, v16, v1
	v_add_f16_e32 v4, v27, v4
	v_add_f16_e32 v0, v12, v0
	v_fma_f16 v12, v38, s11, v62
	v_mul_f16_e32 v55, 0xb9fd, v46
	v_add_f16_e32 v43, v57, v43
	v_sub_f16_e32 v57, v100, v73
	v_add_f16_e32 v1, v17, v1
	;; [unrolled: 7-line block ×3, first 2 shown]
	v_add_f16_e32 v4, v29, v4
	v_add_f16_e32 v0, v12, v0
	v_fma_f16 v12, v44, s14, v80
	v_add_f16_e32 v43, v55, v43
	v_sub_f16_e32 v55, v108, v89
	v_add_f16_e32 v1, v19, v1
	v_add_f16_e32 v4, v30, v4
	;; [unrolled: 1-line block ×3, first 2 shown]
	v_fma_f16 v12, v46, s8, v85
	v_add_f16_e32 v43, v55, v43
	v_add_f16_e32 v1, v32, v1
	;; [unrolled: 1-line block ×4, first 2 shown]
	v_fma_f16 v12, v47, s10, v94
	v_add_f16_e32 v0, v12, v0
	v_add_lshl_u32 v12, v24, v35, 2
	v_pack_b32_f16 v14, v43, v45
	v_pack_b32_f16 v1, v1, v4
	ds_write2_b32 v12, v1, v14 offset1:1
	v_pack_b32_f16 v1, v48, v64
	v_pack_b32_f16 v4, v49, v51
	ds_write2_b32 v12, v4, v1 offset0:2 offset1:3
	v_pack_b32_f16 v1, v52, v99
	v_pack_b32_f16 v4, v126, v125
	ds_write2_b32 v12, v1, v4 offset0:4 offset1:5
	v_pack_b32_f16 v1, v6, v5
	v_pack_b32_f16 v4, v119, v112
	s_mov_b32 s8, 0x5040100
	ds_write2_b32 v12, v4, v1 offset0:6 offset1:7
	v_pack_b32_f16 v0, v0, v7
	v_perm_b32 v1, v33, v2, s8
	ds_write2_b32 v12, v0, v1 offset0:8 offset1:9
	v_perm_b32 v0, v41, v39, s8
	v_perm_b32 v1, v42, v3, s8
	ds_write2_b32 v12, v1, v0 offset0:10 offset1:11
	v_perm_b32 v0, v36, v13, s8
	ds_write_b32 v12, v0 offset:48
.LBB0_7:
	s_or_b64 exec, exec, s[0:1]
	v_add_lshl_u32 v37, v24, v8, 2
	v_add_u32_e32 v6, 0x400, v37
	s_waitcnt lgkmcnt(0)
	s_barrier
	ds_read2_b32 v[4:5], v37 offset1:39
	ds_read2_b32 v[0:1], v37 offset0:78 offset1:130
	ds_read2_b32 v[6:7], v6 offset0:4 offset1:43
	ds_read2_b32 v[22:23], v37 offset0:169 offset1:208
	ds_read_b32 v12, v37 offset:1352
	v_cmp_gt_u16_e64 s[0:1], 13, v8
	s_and_saveexec_b64 s[8:9], s[0:1]
	s_cbranch_execz .LBB0_9
; %bb.8:
	ds_read2_b32 v[2:3], v37 offset0:117 offset1:247
	ds_read_b32 v39, v37 offset:1508
	s_waitcnt lgkmcnt(1)
	v_lshrrev_b32_e32 v33, 16, v2
	v_lshrrev_b32_e32 v42, 16, v3
	s_waitcnt lgkmcnt(0)
	v_lshrrev_b32_e32 v41, 16, v39
.LBB0_9:
	s_or_b64 exec, exec, s[8:9]
	s_movk_i32 s8, 0x4f
	v_add_u16_e32 v16, 39, v8
	v_mul_lo_u16_sdwa v14, v8, s8 dst_sel:DWORD dst_unused:UNUSED_PAD src0_sel:BYTE_0 src1_sel:DWORD
	v_mul_lo_u16_sdwa v17, v16, s8 dst_sel:DWORD dst_unused:UNUSED_PAD src0_sel:BYTE_0 src1_sel:DWORD
	v_lshrrev_b16_e32 v25, 10, v14
	v_lshrrev_b16_e32 v27, 10, v17
	v_mul_lo_u16_e32 v14, 13, v25
	v_mul_lo_u16_e32 v17, 13, v27
	v_sub_u16_e32 v26, v8, v14
	v_mov_b32_e32 v14, 3
	v_sub_u16_e32 v28, v16, v17
	v_lshlrev_b32_sdwa v15, v14, v26 dst_sel:DWORD dst_unused:UNUSED_PAD src0_sel:DWORD src1_sel:BYTE_0
	v_lshlrev_b32_sdwa v18, v14, v28 dst_sel:DWORD dst_unused:UNUSED_PAD src0_sel:DWORD src1_sel:BYTE_0
	global_load_dwordx2 v[16:17], v15, s[4:5]
	global_load_dwordx2 v[20:21], v18, s[4:5]
	v_add_u16_e32 v15, 0x4e, v8
	v_mul_lo_u16_sdwa v19, v15, s8 dst_sel:DWORD dst_unused:UNUSED_PAD src0_sel:BYTE_0 src1_sel:DWORD
	v_lshrrev_b16_e32 v29, 10, v19
	v_mul_lo_u16_e32 v18, 13, v29
	v_sub_u16_e32 v30, v15, v18
	v_lshlrev_b32_sdwa v14, v14, v30 dst_sel:DWORD dst_unused:UNUSED_PAD src0_sel:DWORD src1_sel:BYTE_0
	global_load_dwordx2 v[18:19], v14, s[4:5]
	v_add_u16_e32 v14, 0x75, v8
	v_mul_lo_u16_sdwa v15, v14, s8 dst_sel:DWORD dst_unused:UNUSED_PAD src0_sel:BYTE_0 src1_sel:DWORD
	v_lshrrev_b16_e32 v15, 10, v15
	v_mul_lo_u16_e32 v15, 13, v15
	v_sub_u16_e32 v38, v14, v15
	v_lshlrev_b16_e32 v14, 1, v38
	v_and_b32_e32 v14, 0xfe, v14
	v_lshlrev_b32_e32 v14, 2, v14
	global_load_dwordx2 v[14:15], v14, s[4:5]
	s_waitcnt lgkmcnt(3)
	v_lshrrev_b32_e32 v32, 16, v1
	s_waitcnt lgkmcnt(2)
	v_lshrrev_b32_e32 v34, 16, v6
	;; [unrolled: 2-line block ×3, first 2 shown]
	v_lshrrev_b32_e32 v44, 16, v7
	v_lshrrev_b32_e32 v46, 16, v23
	s_load_dwordx4 s[8:11], s[6:7], 0x0
	v_lshrrev_b32_e32 v40, 16, v5
	s_movk_i32 s6, 0x3aee
	s_mov_b32 s7, 0xbaee
	v_lshrrev_b32_e32 v31, 16, v4
	s_waitcnt lgkmcnt(0)
	v_lshrrev_b32_e32 v47, 16, v12
	v_lshrrev_b32_e32 v45, 16, v0
	v_mul_u32_u24_e32 v25, 39, v25
	v_add_u32_sdwa v25, v25, v26 dst_sel:DWORD dst_unused:UNUSED_PAD src0_sel:DWORD src1_sel:BYTE_0
	s_barrier
	s_waitcnt vmcnt(3)
	v_mul_f16_sdwa v48, v32, v16 dst_sel:DWORD dst_unused:UNUSED_PAD src0_sel:DWORD src1_sel:WORD_1
	v_mul_f16_sdwa v49, v1, v16 dst_sel:DWORD dst_unused:UNUSED_PAD src0_sel:DWORD src1_sel:WORD_1
	;; [unrolled: 1-line block ×3, first 2 shown]
	s_waitcnt vmcnt(2)
	v_mul_f16_sdwa v52, v43, v20 dst_sel:DWORD dst_unused:UNUSED_PAD src0_sel:DWORD src1_sel:WORD_1
	v_mul_f16_sdwa v54, v44, v21 dst_sel:DWORD dst_unused:UNUSED_PAD src0_sel:DWORD src1_sel:WORD_1
	v_fma_f16 v1, v1, v16, -v48
	v_mul_f16_sdwa v51, v6, v17 dst_sel:DWORD dst_unused:UNUSED_PAD src0_sel:DWORD src1_sel:WORD_1
	v_mul_f16_sdwa v53, v22, v20 dst_sel:DWORD dst_unused:UNUSED_PAD src0_sel:DWORD src1_sel:WORD_1
	;; [unrolled: 1-line block ×3, first 2 shown]
	s_waitcnt vmcnt(1)
	v_mul_f16_sdwa v56, v46, v18 dst_sel:DWORD dst_unused:UNUSED_PAD src0_sel:DWORD src1_sel:WORD_1
	v_fma_f16 v32, v32, v16, v49
	v_fma_f16 v48, v6, v17, -v50
	v_fma_f16 v22, v22, v20, -v52
	v_fma_f16 v49, v7, v21, -v54
	v_add_f16_e32 v52, v4, v1
	v_mul_f16_sdwa v57, v23, v18 dst_sel:DWORD dst_unused:UNUSED_PAD src0_sel:DWORD src1_sel:WORD_1
	v_fma_f16 v34, v34, v17, v51
	s_waitcnt vmcnt(0)
	v_mul_f16_sdwa v6, v42, v14 dst_sel:DWORD dst_unused:UNUSED_PAD src0_sel:DWORD src1_sel:WORD_1
	v_mul_f16_sdwa v50, v41, v15 dst_sel:DWORD dst_unused:UNUSED_PAD src0_sel:DWORD src1_sel:WORD_1
	v_fma_f16 v43, v43, v20, v53
	v_fma_f16 v44, v44, v21, v55
	v_fma_f16 v23, v23, v18, -v56
	v_mul_f16_sdwa v7, v3, v14 dst_sel:DWORD dst_unused:UNUSED_PAD src0_sel:DWORD src1_sel:WORD_1
	v_mul_f16_sdwa v51, v39, v15 dst_sel:DWORD dst_unused:UNUSED_PAD src0_sel:DWORD src1_sel:WORD_1
	v_add_f16_e32 v53, v1, v48
	v_sub_f16_e32 v56, v1, v48
	v_fma_f16 v1, v3, v14, -v6
	v_fma_f16 v3, v39, v15, -v50
	v_add_f16_e32 v39, v52, v48
	v_add_f16_e32 v48, v22, v49
	v_fma_f16 v46, v46, v18, v57
	v_add_f16_e32 v57, v5, v22
	v_fma_f16 v5, v48, -0.5, v5
	v_sub_f16_e32 v48, v43, v44
	v_fma_f16 v50, v48, s6, v5
	v_fma_f16 v5, v48, s7, v5
	v_add_f16_e32 v48, v40, v43
	v_add_f16_e32 v43, v43, v44
	v_mul_f16_sdwa v58, v47, v19 dst_sel:DWORD dst_unused:UNUSED_PAD src0_sel:DWORD src1_sel:WORD_1
	v_sub_f16_e32 v54, v32, v34
	v_add_f16_e32 v55, v31, v32
	v_add_f16_e32 v32, v32, v34
	v_fma_f16 v40, v43, -0.5, v40
	v_sub_f16_e32 v22, v22, v49
	v_mul_f16_sdwa v59, v12, v19 dst_sel:DWORD dst_unused:UNUSED_PAD src0_sel:DWORD src1_sel:WORD_1
	v_fma_f16 v12, v12, v19, -v58
	v_fma_f16 v31, v32, -0.5, v31
	v_add_f16_e32 v32, v57, v49
	v_fma_f16 v49, v22, s7, v40
	v_fma_f16 v22, v22, s6, v40
	v_add_f16_e32 v40, v0, v23
	v_fma_f16 v47, v47, v19, v59
	v_fma_f16 v6, v42, v14, v7
	;; [unrolled: 1-line block ×3, first 2 shown]
	v_add_f16_e32 v51, v40, v12
	v_add_f16_e32 v40, v23, v12
	v_fma_f16 v0, v40, -0.5, v0
	v_sub_f16_e32 v40, v46, v47
	v_fma_f16 v52, v40, s6, v0
	v_fma_f16 v0, v40, s7, v0
	v_add_f16_e32 v40, v45, v46
	v_fma_f16 v4, v53, -0.5, v4
	v_add_f16_e32 v53, v40, v47
	v_add_f16_e32 v40, v46, v47
	v_fma_f16 v40, v40, -0.5, v45
	v_sub_f16_e32 v12, v23, v12
	v_fma_f16 v45, v12, s7, v40
	v_fma_f16 v46, v12, s6, v40
	v_add_f16_e32 v12, v1, v3
	v_fma_f16 v12, v12, -0.5, v2
	v_sub_f16_e32 v40, v6, v7
	v_fma_f16 v23, v40, s6, v12
	v_fma_f16 v12, v40, s7, v12
	v_add_f16_e32 v40, v6, v7
	v_fma_f16 v41, v54, s6, v4
	v_fma_f16 v4, v54, s7, v4
	;; [unrolled: 1-line block ×4, first 2 shown]
	v_add_f16_e32 v48, v48, v44
	v_fma_f16 v40, v40, -0.5, v33
	v_sub_f16_e32 v44, v1, v3
	v_fma_f16 v43, v44, s7, v40
	v_fma_f16 v44, v44, s6, v40
	v_add_lshl_u32 v40, v24, v25, 2
	v_pack_b32_f16 v4, v4, v31
	v_add_f16_e32 v34, v55, v34
	ds_write_b32 v40, v4 offset:104
	v_mul_u32_u24_e32 v4, 39, v27
	v_pack_b32_f16 v25, v39, v34
	v_pack_b32_f16 v26, v41, v42
	v_add_u32_sdwa v4, v4, v28 dst_sel:DWORD dst_unused:UNUSED_PAD src0_sel:DWORD src1_sel:BYTE_0
	ds_write2_b32 v40, v25, v26 offset1:13
	v_add_lshl_u32 v41, v24, v4, 2
	v_pack_b32_f16 v4, v32, v48
	v_pack_b32_f16 v25, v50, v49
	ds_write2_b32 v41, v4, v25 offset1:13
	v_pack_b32_f16 v4, v5, v22
	ds_write_b32 v41, v4 offset:104
	v_mul_u32_u24_e32 v4, 39, v29
	v_add_u32_sdwa v4, v4, v30 dst_sel:DWORD dst_unused:UNUSED_PAD src0_sel:DWORD src1_sel:BYTE_0
	v_add_lshl_u32 v42, v24, v4, 2
	v_pack_b32_f16 v4, v51, v53
	v_pack_b32_f16 v5, v52, v45
	;; [unrolled: 1-line block ×3, first 2 shown]
	ds_write2_b32 v42, v4, v5 offset1:13
	ds_write_b32 v42, v0 offset:104
	s_and_saveexec_b64 s[6:7], s[0:1]
	s_cbranch_execz .LBB0_11
; %bb.10:
	v_add_f16_e32 v0, v33, v6
	v_add_f16_e32 v1, v2, v1
	v_and_b32_e32 v2, 0xff, v38
	v_add_f16_e32 v0, v0, v7
	v_add_f16_e32 v1, v1, v3
	v_add_lshl_u32 v2, v24, v2, 2
	s_mov_b32 s14, 0x5040100
	v_pack_b32_f16 v0, v1, v0
	v_perm_b32 v1, v43, v23, s14
	v_add_u32_e32 v3, 0x400, v2
	ds_write2_b32 v3, v0, v1 offset0:95 offset1:108
	v_perm_b32 v0, v44, v12, s14
	ds_write_b32 v2, v0 offset:1508
.LBB0_11:
	s_or_b64 exec, exec, s[6:7]
	v_mad_u64_u32 v[24:25], s[4:5], v8, 36, s[4:5]
	s_waitcnt lgkmcnt(0)
	s_barrier
	global_load_dwordx4 v[0:3], v[24:25], off offset:104
	global_load_dwordx4 v[4:7], v[24:25], off offset:120
	global_load_dword v39, v[24:25], off offset:136
	ds_read2_b32 v[24:25], v37 offset1:39
	ds_read2_b32 v[26:27], v37 offset0:117 offset1:156
	ds_read2_b32 v[28:29], v37 offset0:195 offset1:234
	v_add_u32_e32 v22, 0x400, v37
	ds_read_b32 v32, v37 offset:312
	ds_read_b32 v33, v37 offset:1404
	ds_read2_b32 v[30:31], v22 offset0:17 offset1:56
	s_waitcnt lgkmcnt(4)
	v_lshrrev_b32_e32 v47, 16, v27
	s_waitcnt lgkmcnt(3)
	v_lshrrev_b32_e32 v49, 16, v29
	;; [unrolled: 2-line block ×3, first 2 shown]
	v_lshrrev_b32_e32 v34, 16, v25
	s_waitcnt lgkmcnt(0)
	v_lshrrev_b32_e32 v52, 16, v31
	v_lshrrev_b32_e32 v46, 16, v26
	s_movk_i32 s4, 0x3b9c
	s_mov_b32 s7, 0xbb9c
	s_movk_i32 s5, 0x38b4
	s_mov_b32 s14, 0xb8b4
	s_movk_i32 s6, 0x34f2
	v_lshrrev_b32_e32 v22, 16, v24
	v_lshrrev_b32_e32 v48, 16, v28
	;; [unrolled: 1-line block ×4, first 2 shown]
	s_movk_i32 s15, 0x3a79
	s_waitcnt vmcnt(2)
	v_mul_f16_sdwa v59, v47, v3 dst_sel:DWORD dst_unused:UNUSED_PAD src0_sel:DWORD src1_sel:WORD_1
	s_waitcnt vmcnt(1)
	v_mul_f16_sdwa v63, v49, v5 dst_sel:DWORD dst_unused:UNUSED_PAD src0_sel:DWORD src1_sel:WORD_1
	v_mul_f16_sdwa v54, v25, v0 dst_sel:DWORD dst_unused:UNUSED_PAD src0_sel:DWORD src1_sel:WORD_1
	;; [unrolled: 1-line block ×8, first 2 shown]
	v_fma_f16 v27, v27, v3, -v59
	v_fma_f16 v29, v29, v5, -v63
	v_mul_f16_sdwa v53, v34, v0 dst_sel:DWORD dst_unused:UNUSED_PAD src0_sel:DWORD src1_sel:WORD_1
	v_mul_f16_sdwa v57, v46, v2 dst_sel:DWORD dst_unused:UNUSED_PAD src0_sel:DWORD src1_sel:WORD_1
	;; [unrolled: 1-line block ×3, first 2 shown]
	v_fma_f16 v34, v34, v0, v54
	v_fma_f16 v32, v32, v1, -v55
	v_fma_f16 v45, v45, v1, v56
	v_fma_f16 v31, v31, v7, -v67
	v_fma_f16 v52, v52, v7, v68
	v_add_f16_e32 v54, v27, v29
	v_fma_f16 v26, v26, v2, -v57
	v_fma_f16 v46, v46, v2, v58
	v_fma_f16 v47, v47, v3, v60
	;; [unrolled: 1-line block ×3, first 2 shown]
	v_sub_f16_e32 v55, v45, v52
	v_sub_f16_e32 v57, v32, v27
	;; [unrolled: 1-line block ×3, first 2 shown]
	v_fma_f16 v54, v54, -0.5, v24
	v_sub_f16_e32 v56, v47, v49
	v_add_f16_e32 v59, v32, v31
	v_add_f16_e32 v57, v57, v58
	v_fma_f16 v58, v55, s4, v54
	v_fma_f16 v54, v55, s7, v54
	v_fma_f16 v25, v25, v0, -v53
	v_add_f16_e32 v53, v24, v32
	v_fma_f16 v24, v59, -0.5, v24
	v_fma_f16 v58, v56, s5, v58
	v_fma_f16 v54, v56, s14, v54
	v_sub_f16_e32 v60, v27, v32
	v_fma_f16 v59, v56, s7, v24
	v_fma_f16 v58, v57, s6, v58
	;; [unrolled: 1-line block ×3, first 2 shown]
	v_sub_f16_e32 v57, v29, v31
	v_fma_f16 v24, v56, s4, v24
	v_add_f16_e32 v57, v60, v57
	v_fma_f16 v24, v55, s14, v24
	v_fma_f16 v59, v55, s5, v59
	v_fma_f16 v55, v57, s6, v24
	v_add_f16_e32 v24, v22, v45
	v_add_f16_e32 v24, v24, v47
	;; [unrolled: 1-line block ×8, first 2 shown]
	v_fma_f16 v24, v24, -0.5, v22
	v_sub_f16_e32 v31, v32, v31
	v_fma_f16 v32, v31, s7, v24
	v_sub_f16_e32 v27, v27, v29
	v_fma_f16 v59, v57, s6, v59
	v_fma_f16 v29, v27, s14, v32
	v_sub_f16_e32 v32, v45, v47
	v_sub_f16_e32 v57, v52, v49
	v_fma_f16 v24, v31, s4, v24
	v_add_f16_e32 v32, v32, v57
	v_fma_f16 v24, v27, s5, v24
	v_fma_f16 v57, v32, s6, v29
	;; [unrolled: 1-line block ×3, first 2 shown]
	v_add_f16_e32 v24, v45, v52
	v_fma_f16 v22, v24, -0.5, v22
	v_mul_f16_sdwa v61, v48, v4 dst_sel:DWORD dst_unused:UNUSED_PAD src0_sel:DWORD src1_sel:WORD_1
	v_mul_f16_sdwa v65, v51, v6 dst_sel:DWORD dst_unused:UNUSED_PAD src0_sel:DWORD src1_sel:WORD_1
	v_fma_f16 v24, v27, s4, v22
	v_sub_f16_e32 v29, v47, v45
	v_sub_f16_e32 v45, v49, v52
	v_mul_f16_sdwa v62, v28, v4 dst_sel:DWORD dst_unused:UNUSED_PAD src0_sel:DWORD src1_sel:WORD_1
	v_mul_f16_sdwa v66, v30, v6 dst_sel:DWORD dst_unused:UNUSED_PAD src0_sel:DWORD src1_sel:WORD_1
	s_waitcnt vmcnt(0)
	v_mul_f16_sdwa v70, v33, v39 dst_sel:DWORD dst_unused:UNUSED_PAD src0_sel:DWORD src1_sel:WORD_1
	v_fma_f16 v28, v28, v4, -v61
	v_fma_f16 v30, v30, v6, -v65
	v_fma_f16 v24, v31, s14, v24
	v_add_f16_e32 v29, v29, v45
	v_mul_f16_sdwa v69, v50, v39 dst_sel:DWORD dst_unused:UNUSED_PAD src0_sel:DWORD src1_sel:WORD_1
	v_fma_f16 v50, v50, v39, v70
	v_fma_f16 v60, v29, s6, v24
	;; [unrolled: 1-line block ×3, first 2 shown]
	v_add_f16_e32 v24, v28, v30
	v_fma_f16 v48, v48, v4, v62
	v_fma_f16 v51, v51, v6, v66
	v_fma_f16 v33, v33, v39, -v69
	v_fma_f16 v22, v31, s5, v22
	v_fma_f16 v24, v24, -0.5, v25
	v_sub_f16_e32 v27, v46, v50
	v_fma_f16 v61, v29, s6, v22
	v_fma_f16 v29, v27, s4, v24
	v_sub_f16_e32 v31, v48, v51
	v_sub_f16_e32 v45, v26, v28
	;; [unrolled: 1-line block ×3, first 2 shown]
	v_fma_f16 v24, v27, s7, v24
	v_add_f16_e32 v45, v45, v47
	v_fma_f16 v24, v31, s14, v24
	v_fma_f16 v52, v45, s6, v24
	v_add_f16_e32 v24, v26, v33
	v_fma_f16 v29, v31, s5, v29
	v_fma_f16 v24, v24, -0.5, v25
	v_add_f16_e32 v22, v25, v26
	v_fma_f16 v29, v45, s6, v29
	v_fma_f16 v25, v31, s7, v24
	v_sub_f16_e32 v45, v28, v26
	v_sub_f16_e32 v47, v30, v33
	v_fma_f16 v24, v31, s4, v24
	v_add_f16_e32 v45, v45, v47
	v_fma_f16 v24, v27, s14, v24
	v_fma_f16 v31, v45, s6, v24
	v_add_f16_e32 v24, v34, v46
	v_add_f16_e32 v24, v24, v48
	;; [unrolled: 1-line block ×3, first 2 shown]
	v_fma_f16 v25, v27, s5, v25
	v_add_f16_e32 v62, v24, v50
	v_add_f16_e32 v24, v48, v51
	;; [unrolled: 1-line block ×3, first 2 shown]
	v_fma_f16 v49, v45, s6, v25
	v_fma_f16 v24, v24, -0.5, v34
	v_sub_f16_e32 v25, v26, v33
	v_add_f16_e32 v22, v22, v30
	v_fma_f16 v26, v25, s7, v24
	v_sub_f16_e32 v27, v28, v30
	v_sub_f16_e32 v28, v46, v48
	;; [unrolled: 1-line block ×3, first 2 shown]
	v_fma_f16 v24, v25, s4, v24
	v_fma_f16 v26, v27, s14, v26
	v_add_f16_e32 v28, v28, v30
	v_fma_f16 v24, v27, s5, v24
	v_fma_f16 v30, v28, s6, v26
	;; [unrolled: 1-line block ×3, first 2 shown]
	v_add_f16_e32 v24, v46, v50
	v_fma_f16 v24, v24, -0.5, v34
	v_add_f16_e32 v22, v22, v33
	v_fma_f16 v26, v27, s4, v24
	v_sub_f16_e32 v33, v48, v46
	v_sub_f16_e32 v34, v51, v50
	v_fma_f16 v24, v27, s7, v24
	v_fma_f16 v26, v25, s14, v26
	v_add_f16_e32 v33, v33, v34
	v_fma_f16 v24, v25, s5, v24
	v_fma_f16 v34, v33, s6, v26
	;; [unrolled: 1-line block ×3, first 2 shown]
	v_mul_f16_e32 v24, 0x38b4, v30
	v_fma_f16 v51, v29, s15, v24
	v_mul_f16_e32 v27, 0x3a79, v52
	v_mul_f16_e32 v29, 0xb8b4, v29
	;; [unrolled: 1-line block ×4, first 2 shown]
	v_fma_f16 v65, v28, s5, -v27
	v_fma_f16 v66, v30, s15, v29
	v_mul_f16_e32 v29, 0xbb9c, v49
	v_mul_f16_e32 v28, 0x3a79, v28
	v_add_f16_e32 v45, v53, v22
	v_fma_f16 v63, v49, s6, v25
	v_fma_f16 v64, v33, s4, -v26
	v_add_f16_e32 v46, v56, v62
	v_fma_f16 v34, v34, s6, v29
	v_mul_f16_e32 v29, 0x34f2, v33
	v_fma_f16 v67, v52, s14, -v28
	v_add_f16_e32 v24, v58, v51
	v_add_f16_e32 v25, v59, v63
	;; [unrolled: 1-line block ×5, first 2 shown]
	v_fma_f16 v33, v31, s7, -v29
	v_add_f16_e32 v50, v32, v67
	v_sub_f16_e32 v28, v53, v22
	v_sub_f16_e32 v31, v55, v64
	;; [unrolled: 1-line block ×4, first 2 shown]
	v_lshl_add_u32 v34, v8, 2, v11
	v_pack_b32_f16 v32, v45, v46
	v_add_f16_e32 v27, v54, v65
	v_add_f16_e32 v49, v61, v33
	v_sub_f16_e32 v22, v54, v65
	v_sub_f16_e32 v54, v61, v33
	ds_write_b32 v34, v32
	v_pack_b32_f16 v32, v24, v47
	v_pack_b32_f16 v33, v25, v48
	v_sub_f16_e32 v29, v58, v51
	v_sub_f16_e32 v51, v56, v62
	;; [unrolled: 1-line block ×3, first 2 shown]
	ds_write2_b32 v34, v32, v33 offset0:39 offset1:78
	v_pack_b32_f16 v32, v26, v49
	v_pack_b32_f16 v33, v27, v50
	v_sub_f16_e32 v30, v59, v63
	ds_write2_b32 v34, v32, v33 offset0:117 offset1:156
	v_pack_b32_f16 v32, v28, v51
	v_pack_b32_f16 v33, v29, v52
	ds_write2_b32 v34, v32, v33 offset0:195 offset1:234
	v_pack_b32_f16 v33, v30, v53
	v_pack_b32_f16 v56, v31, v54
	v_add_u32_e32 v32, 0x400, v34
	ds_write2_b32 v32, v33, v56 offset0:17 offset1:56
	v_pack_b32_f16 v33, v22, v55
	ds_write_b32 v34, v33 offset:1404
	s_waitcnt lgkmcnt(0)
	s_barrier
	s_and_saveexec_b64 s[4:5], vcc
	s_cbranch_execz .LBB0_13
; %bb.12:
	global_load_dword v33, v9, s[12:13] offset:1560
	s_add_u32 s6, s12, 0x618
	s_addc_u32 s7, s13, 0
	global_load_dword v68, v9, s[6:7] offset:120
	global_load_dword v69, v9, s[6:7] offset:240
	;; [unrolled: 1-line block ×10, first 2 shown]
	ds_read_b32 v56, v34
	global_load_dword v78, v9, s[6:7] offset:1320
	global_load_dword v79, v9, s[6:7] offset:1440
	s_waitcnt lgkmcnt(0)
	v_lshrrev_b32_e32 v57, 16, v56
	s_waitcnt vmcnt(12)
	v_mul_f16_sdwa v58, v57, v33 dst_sel:DWORD dst_unused:UNUSED_PAD src0_sel:DWORD src1_sel:WORD_1
	v_mul_f16_sdwa v59, v56, v33 dst_sel:DWORD dst_unused:UNUSED_PAD src0_sel:DWORD src1_sel:WORD_1
	v_fma_f16 v56, v56, v33, -v58
	v_fma_f16 v33, v57, v33, v59
	v_pack_b32_f16 v33, v56, v33
	ds_write_b32 v34, v33
	ds_read2_b32 v[56:57], v34 offset0:30 offset1:60
	ds_read2_b32 v[58:59], v34 offset0:90 offset1:120
	;; [unrolled: 1-line block ×6, first 2 shown]
	s_waitcnt lgkmcnt(5)
	v_lshrrev_b32_e32 v33, 16, v56
	s_waitcnt vmcnt(11)
	v_mul_f16_sdwa v80, v56, v68 dst_sel:DWORD dst_unused:UNUSED_PAD src0_sel:DWORD src1_sel:WORD_1
	v_lshrrev_b32_e32 v81, 16, v57
	s_waitcnt vmcnt(10)
	v_mul_f16_sdwa v82, v57, v69 dst_sel:DWORD dst_unused:UNUSED_PAD src0_sel:DWORD src1_sel:WORD_1
	s_waitcnt lgkmcnt(4)
	v_lshrrev_b32_e32 v83, 16, v58
	s_waitcnt vmcnt(9)
	v_mul_f16_sdwa v84, v58, v70 dst_sel:DWORD dst_unused:UNUSED_PAD src0_sel:DWORD src1_sel:WORD_1
	v_lshrrev_b32_e32 v85, 16, v59
	s_waitcnt vmcnt(8)
	v_mul_f16_sdwa v86, v59, v71 dst_sel:DWORD dst_unused:UNUSED_PAD src0_sel:DWORD src1_sel:WORD_1
	;; [unrolled: 7-line block ×4, first 2 shown]
	s_waitcnt lgkmcnt(1)
	v_lshrrev_b32_e32 v95, 16, v64
	s_waitcnt vmcnt(3)
	v_mul_f16_sdwa v96, v64, v76 dst_sel:DWORD dst_unused:UNUSED_PAD src0_sel:DWORD src1_sel:WORD_1
	v_lshrrev_b32_e32 v97, 16, v65
	v_mul_f16_sdwa v99, v33, v68 dst_sel:DWORD dst_unused:UNUSED_PAD src0_sel:DWORD src1_sel:WORD_1
	v_fma_f16 v33, v33, v68, v80
	v_mul_f16_sdwa v80, v81, v69 dst_sel:DWORD dst_unused:UNUSED_PAD src0_sel:DWORD src1_sel:WORD_1
	s_waitcnt vmcnt(2)
	v_mul_f16_sdwa v98, v65, v77 dst_sel:DWORD dst_unused:UNUSED_PAD src0_sel:DWORD src1_sel:WORD_1
	v_fma_f16 v81, v81, v69, v82
	v_mul_f16_sdwa v82, v83, v70 dst_sel:DWORD dst_unused:UNUSED_PAD src0_sel:DWORD src1_sel:WORD_1
	v_fma_f16 v83, v83, v70, v84
	;; [unrolled: 2-line block ×8, first 2 shown]
	v_mul_f16_sdwa v96, v97, v77 dst_sel:DWORD dst_unused:UNUSED_PAD src0_sel:DWORD src1_sel:WORD_1
	v_fma_f16 v56, v56, v68, -v99
	v_fma_f16 v57, v57, v69, -v80
	v_fma_f16 v97, v97, v77, v98
	v_fma_f16 v58, v58, v70, -v82
	v_fma_f16 v59, v59, v71, -v84
	;; [unrolled: 1-line block ×8, first 2 shown]
	v_pack_b32_f16 v33, v56, v33
	v_pack_b32_f16 v56, v57, v81
	v_pack_b32_f16 v57, v58, v83
	v_pack_b32_f16 v58, v59, v85
	v_pack_b32_f16 v59, v60, v87
	v_pack_b32_f16 v60, v61, v89
	v_pack_b32_f16 v61, v62, v91
	v_pack_b32_f16 v62, v63, v93
	v_pack_b32_f16 v63, v64, v95
	v_pack_b32_f16 v64, v65, v97
	ds_write2_b32 v34, v33, v56 offset0:30 offset1:60
	ds_write2_b32 v34, v57, v58 offset0:90 offset1:120
	;; [unrolled: 1-line block ×5, first 2 shown]
	s_waitcnt lgkmcnt(5)
	v_lshrrev_b32_e32 v33, 16, v66
	s_waitcnt vmcnt(1)
	v_mul_f16_sdwa v56, v33, v78 dst_sel:DWORD dst_unused:UNUSED_PAD src0_sel:DWORD src1_sel:WORD_1
	v_mul_f16_sdwa v57, v66, v78 dst_sel:DWORD dst_unused:UNUSED_PAD src0_sel:DWORD src1_sel:WORD_1
	v_fma_f16 v56, v66, v78, -v56
	v_fma_f16 v33, v33, v78, v57
	v_pack_b32_f16 v33, v56, v33
	v_lshrrev_b32_e32 v56, 16, v67
	s_waitcnt vmcnt(0)
	v_mul_f16_sdwa v57, v56, v79 dst_sel:DWORD dst_unused:UNUSED_PAD src0_sel:DWORD src1_sel:WORD_1
	v_mul_f16_sdwa v58, v67, v79 dst_sel:DWORD dst_unused:UNUSED_PAD src0_sel:DWORD src1_sel:WORD_1
	v_fma_f16 v57, v67, v79, -v57
	v_fma_f16 v56, v56, v79, v58
	v_pack_b32_f16 v56, v57, v56
	ds_write2_b32 v32, v33, v56 offset0:74 offset1:104
.LBB0_13:
	s_or_b64 exec, exec, s[4:5]
	s_waitcnt lgkmcnt(0)
	s_barrier
	s_and_saveexec_b64 s[4:5], vcc
	s_cbranch_execz .LBB0_15
; %bb.14:
	v_add_u32_e32 v12, 0x400, v34
	ds_read_b32 v45, v34
	ds_read2_b32 v[24:25], v34 offset0:30 offset1:60
	ds_read2_b32 v[26:27], v34 offset0:90 offset1:120
	;; [unrolled: 1-line block ×6, first 2 shown]
	s_waitcnt lgkmcnt(6)
	v_lshrrev_b32_e32 v46, 16, v45
	s_waitcnt lgkmcnt(5)
	v_lshrrev_b32_e32 v47, 16, v24
	v_lshrrev_b32_e32 v48, 16, v25
	s_waitcnt lgkmcnt(4)
	v_lshrrev_b32_e32 v49, 16, v26
	;; [unrolled: 3-line block ×6, first 2 shown]
	v_lshrrev_b32_e32 v36, 16, v13
.LBB0_15:
	s_or_b64 exec, exec, s[4:5]
	v_sub_f16_e32 v69, v47, v36
	v_add_f16_e32 v60, v13, v24
	v_add_f16_e32 v72, v36, v47
	s_movk_i32 s6, 0x388b
	v_mul_f16_e32 v75, 0xba95, v69
	v_sub_f16_e32 v74, v48, v44
	v_sub_f16_e32 v61, v24, v13
	s_mov_b32 s15, 0xba95
	v_mul_f16_e32 v77, 0x388b, v72
	v_fma_f16 v32, v60, s6, -v75
	s_mov_b32 s14, 0xb5ac
	v_add_f16_e32 v62, v12, v25
	v_add_f16_e32 v76, v44, v48
	v_mul_f16_e32 v79, 0xbb7b, v74
	v_add_f16_e32 v32, v45, v32
	v_fma_f16 v33, v61, s15, v77
	s_movk_i32 s7, 0x2fb7
	v_mul_f16_e32 v81, 0xbbf1, v69
	s_mov_b32 s17, 0xbb7b
	v_sub_f16_e32 v63, v25, v12
	v_mul_f16_e32 v82, 0xb5ac, v76
	v_fma_f16 v64, v62, s14, -v79
	v_add_f16_e32 v33, v46, v33
	s_mov_b32 s16, 0xbbf1
	v_mul_f16_e32 v84, 0x2fb7, v72
	v_fma_f16 v56, v60, s7, -v81
	v_add_f16_e32 v32, v64, v32
	v_fma_f16 v64, v63, s17, v82
	s_mov_b32 s18, 0xbbc4
	v_mul_f16_e32 v87, 0xb3a8, v74
	v_add_f16_e32 v56, v45, v56
	v_fma_f16 v57, v61, s16, v84
	v_mul_f16_e32 v90, 0xbb7b, v69
	v_add_f16_e32 v33, v64, v33
	s_mov_b32 s20, 0xb3a8
	v_mul_f16_e32 v91, 0xbbc4, v76
	v_fma_f16 v64, v62, s18, -v87
	v_add_f16_e32 v57, v46, v57
	v_mul_f16_e32 v95, 0xb5ac, v72
	v_fma_f16 v58, v60, s14, -v90
	v_add_f16_e32 v56, v64, v56
	v_fma_f16 v64, v63, s20, v91
	s_mov_b32 s19, 0xb9fd
	v_mul_f16_e32 v98, 0x394e, v74
	v_add_f16_e32 v58, v45, v58
	v_fma_f16 v59, v61, s17, v95
	v_add_f16_e32 v57, v64, v57
	s_movk_i32 s26, 0x394e
	v_mul_f16_e32 v102, 0xb9fd, v76
	v_fma_f16 v64, v62, s19, -v98
	v_add_f16_e32 v59, v46, v59
	v_add_f16_e32 v58, v64, v58
	v_fma_f16 v64, v63, s26, v102
	v_sub_f16_e32 v78, v49, v43
	v_add_f16_e32 v59, v64, v59
	v_add_f16_e32 v64, v23, v26
	v_add_f16_e32 v80, v43, v49
	v_mul_f16_e32 v85, 0xb3a8, v78
	v_sub_f16_e32 v65, v26, v23
	v_mul_f16_e32 v89, 0xbbc4, v80
	v_fma_f16 v66, v64, s18, -v85
	v_add_f16_e32 v32, v66, v32
	v_fma_f16 v66, v65, s20, v89
	v_mul_f16_e32 v96, 0x3b7b, v78
	v_add_f16_e32 v33, v66, v33
	s_movk_i32 s27, 0x3b7b
	v_mul_f16_e32 v99, 0xb5ac, v80
	v_fma_f16 v66, v64, s14, -v96
	v_add_f16_e32 v56, v66, v56
	v_fma_f16 v66, v65, s27, v99
	s_movk_i32 s21, 0x3b15
	v_mul_f16_e32 v105, 0x3770, v78
	v_add_f16_e32 v57, v66, v57
	s_movk_i32 s22, 0x3770
	v_mul_f16_e32 v109, 0x3b15, v80
	v_fma_f16 v66, v64, s21, -v105
	v_add_f16_e32 v58, v66, v58
	v_fma_f16 v66, v65, s22, v109
	v_sub_f16_e32 v83, v50, v55
	v_add_f16_e32 v59, v66, v59
	v_add_f16_e32 v66, v22, v27
	;; [unrolled: 1-line block ×3, first 2 shown]
	v_mul_f16_e32 v92, 0x394e, v83
	v_sub_f16_e32 v67, v27, v22
	v_mul_f16_e32 v97, 0xb9fd, v86
	v_fma_f16 v68, v66, s19, -v92
	v_add_f16_e32 v32, v68, v32
	v_fma_f16 v68, v67, s26, v97
	v_mul_f16_e32 v103, 0x3770, v83
	v_add_f16_e32 v33, v68, v33
	v_mul_f16_e32 v107, 0x3b15, v86
	v_fma_f16 v68, v66, s21, -v103
	v_add_f16_e32 v56, v68, v56
	v_fma_f16 v68, v67, s22, v107
	v_mul_f16_e32 v111, 0xbbf1, v83
	v_add_f16_e32 v57, v68, v57
	v_mul_f16_e32 v113, 0x2fb7, v86
	v_fma_f16 v68, v66, s7, -v111
	v_add_f16_e32 v58, v68, v58
	v_fma_f16 v68, v67, s16, v113
	v_sub_f16_e32 v88, v51, v54
	v_add_f16_e32 v59, v68, v59
	v_add_f16_e32 v68, v31, v28
	;; [unrolled: 1-line block ×3, first 2 shown]
	v_mul_f16_e32 v100, 0x3bf1, v88
	v_sub_f16_e32 v70, v28, v31
	s_movk_i32 s23, 0x3bf1
	v_mul_f16_e32 v104, 0x2fb7, v93
	v_fma_f16 v71, v68, s7, -v100
	v_add_f16_e32 v32, v71, v32
	v_fma_f16 v71, v70, s23, v104
	v_mul_f16_e32 v108, 0xba95, v88
	v_add_f16_e32 v114, v71, v33
	v_mul_f16_e32 v112, 0x388b, v93
	v_fma_f16 v33, v68, s6, -v108
	v_add_f16_e32 v56, v33, v56
	v_fma_f16 v33, v70, s15, v112
	v_mul_f16_e32 v115, 0x33a8, v88
	v_add_f16_e32 v118, v33, v57
	s_movk_i32 s25, 0x33a8
	v_mul_f16_e32 v117, 0xbbc4, v93
	v_fma_f16 v33, v68, s18, -v115
	v_sub_f16_e32 v94, v52, v53
	v_add_f16_e32 v58, v33, v58
	v_fma_f16 v33, v70, s25, v117
	v_add_f16_e32 v71, v30, v29
	v_add_f16_e32 v101, v53, v52
	v_mul_f16_e32 v106, 0x3770, v94
	v_add_f16_e32 v120, v33, v59
	v_sub_f16_e32 v73, v29, v30
	v_mul_f16_e32 v110, 0x3b15, v101
	v_fma_f16 v33, v71, s21, -v106
	v_add_f16_e32 v33, v33, v32
	v_fma_f16 v32, v73, s22, v110
	v_add_f16_e32 v57, v32, v114
	v_mul_f16_e32 v114, 0xb94e, v94
	s_mov_b32 s24, 0xb94e
	v_mul_f16_e32 v116, 0xb9fd, v101
	v_fma_f16 v32, v71, s19, -v114
	v_add_f16_e32 v32, v32, v56
	v_fma_f16 v56, v73, s24, v116
	v_add_f16_e32 v59, v56, v118
	v_mul_f16_e32 v118, 0x3a95, v94
	s_movk_i32 s28, 0x3a95
	v_mul_f16_e32 v119, 0x388b, v101
	v_fma_f16 v56, v71, s6, -v118
	v_add_f16_e32 v56, v56, v58
	v_fma_f16 v58, v73, s28, v119
	v_add_f16_e32 v58, v58, v120
	s_barrier
	s_and_saveexec_b64 s[4:5], vcc
	s_cbranch_execz .LBB0_17
; %bb.16:
	v_mul_f16_e32 v154, 0xbbc4, v72
	v_fma_f16 v155, v61, s25, v154
	v_mul_f16_e32 v156, 0x3b15, v76
	s_mov_b32 s29, 0xb770
	v_add_f16_e32 v155, v46, v155
	v_fma_f16 v157, v63, s29, v156
	v_add_f16_e32 v155, v157, v155
	v_mul_f16_e32 v157, 0xb9fd, v80
	v_fma_f16 v158, v65, s26, v157
	v_add_f16_e32 v155, v158, v155
	v_mul_f16_e32 v158, 0x388b, v86
	;; [unrolled: 3-line block ×4, first 2 shown]
	v_fma_f16 v161, v73, s16, v160
	v_add_f16_e32 v24, v24, v45
	v_add_f16_e32 v155, v161, v155
	v_mul_f16_e32 v161, 0xb3a8, v69
	v_add_f16_e32 v24, v25, v24
	v_fma_f16 v162, v60, s18, v161
	v_mul_f16_e32 v163, 0x3770, v74
	v_add_f16_e32 v24, v26, v24
	v_add_f16_e32 v162, v45, v162
	v_fma_f16 v164, v62, s21, v163
	v_add_f16_e32 v24, v27, v24
	v_add_f16_e32 v162, v164, v162
	v_mul_f16_e32 v164, 0xb94e, v78
	v_add_f16_e32 v24, v28, v24
	v_fma_f16 v165, v64, s19, v164
	v_add_f16_e32 v24, v29, v24
	v_add_f16_e32 v162, v165, v162
	v_mul_f16_e32 v165, 0x3a95, v83
	;; [unrolled: 5-line block ×4, first 2 shown]
	v_add_f16_e32 v12, v12, v22
	v_fma_f16 v22, v61, s20, v154
	v_fma_f16 v168, v71, s7, v167
	v_add_f16_e32 v22, v46, v22
	v_fma_f16 v23, v63, s22, v156
	v_add_f16_e32 v162, v168, v162
	v_mul_f16_e32 v168, 0xb9fd, v72
	v_add_f16_e32 v22, v23, v22
	v_fma_f16 v23, v65, s24, v157
	v_fma_f16 v169, v61, s26, v168
	v_mul_f16_e32 v170, 0x2fb7, v76
	v_add_f16_e32 v22, v23, v22
	v_fma_f16 v23, v67, s28, v158
	v_add_f16_e32 v169, v46, v169
	v_fma_f16 v171, v63, s16, v170
	;; [unrolled: 2-line block ×3, first 2 shown]
	v_add_f16_e32 v169, v171, v169
	v_mul_f16_e32 v171, 0x388b, v80
	v_add_f16_e32 v22, v23, v22
	v_fma_f16 v23, v73, s23, v160
	v_fma_f16 v172, v65, s28, v171
	v_add_f16_e32 v22, v23, v22
	v_fma_f16 v23, v60, s18, -v161
	v_add_f16_e32 v169, v172, v169
	v_mul_f16_e32 v172, 0xbbc4, v86
	v_add_f16_e32 v23, v45, v23
	v_fma_f16 v24, v62, s21, -v163
	v_fma_f16 v173, v67, s20, v172
	v_add_f16_e32 v23, v24, v23
	v_fma_f16 v24, v64, s19, -v164
	v_add_f16_e32 v169, v173, v169
	v_mul_f16_e32 v173, 0x3b15, v93
	v_add_f16_e32 v23, v24, v23
	v_fma_f16 v24, v66, s6, -v165
	;; [unrolled: 7-line block ×3, first 2 shown]
	v_mul_f16_e32 v120, 0x388b, v60
	v_fma_f16 v175, v73, s27, v174
	v_add_f16_e32 v23, v24, v23
	v_fma_f16 v24, v61, s24, v168
	v_mul_f16_e32 v121, 0xba95, v61
	v_mul_f16_e32 v126, 0xb5ac, v62
	v_add_f16_e32 v169, v175, v169
	v_mul_f16_e32 v175, 0xb94e, v69
	v_add_f16_e32 v75, v120, v75
	v_add_f16_e32 v24, v46, v24
	v_fma_f16 v25, v63, s23, v170
	v_mul_f16_e32 v127, 0xbb7b, v63
	v_mul_f16_e32 v132, 0xbbc4, v64
	v_fma_f16 v176, v60, s19, v175
	v_mul_f16_e32 v177, 0x3bf1, v74
	v_sub_f16_e32 v77, v77, v121
	v_add_f16_e32 v75, v45, v75
	v_add_f16_e32 v79, v126, v79
	;; [unrolled: 1-line block ×3, first 2 shown]
	v_fma_f16 v25, v65, s15, v171
	v_mul_f16_e32 v133, 0xb3a8, v65
	v_mul_f16_e32 v138, 0xb9fd, v66
	v_add_f16_e32 v176, v45, v176
	v_fma_f16 v178, v62, s7, v177
	v_add_f16_e32 v77, v46, v77
	v_sub_f16_e32 v82, v82, v127
	v_add_f16_e32 v75, v79, v75
	v_add_f16_e32 v79, v132, v85
	;; [unrolled: 1-line block ×3, first 2 shown]
	v_fma_f16 v25, v67, s25, v172
	v_mul_f16_e32 v139, 0x394e, v67
	v_mul_f16_e32 v144, 0x2fb7, v68
	v_add_f16_e32 v176, v178, v176
	v_mul_f16_e32 v178, 0xba95, v78
	v_add_f16_e32 v77, v82, v77
	v_sub_f16_e32 v82, v89, v133
	v_add_f16_e32 v75, v79, v75
	v_add_f16_e32 v79, v138, v92
	;; [unrolled: 1-line block ×3, first 2 shown]
	v_fma_f16 v25, v70, s22, v173
	v_mul_f16_e32 v145, 0x3bf1, v70
	v_mul_f16_e32 v150, 0x3b15, v71
	v_fma_f16 v179, v64, s6, v178
	v_add_f16_e32 v77, v82, v77
	v_sub_f16_e32 v82, v97, v139
	v_add_f16_e32 v75, v79, v75
	v_add_f16_e32 v79, v144, v100
	;; [unrolled: 1-line block ×3, first 2 shown]
	v_fma_f16 v25, v73, s17, v174
	v_mul_f16_e32 v151, 0x3770, v73
	v_add_f16_e32 v176, v179, v176
	v_mul_f16_e32 v179, 0x33a8, v83
	v_add_f16_e32 v77, v82, v77
	v_sub_f16_e32 v82, v104, v145
	v_add_f16_e32 v75, v79, v75
	v_add_f16_e32 v79, v150, v106
	v_mul_f16_e32 v72, 0x3b15, v72
	v_add_f16_e32 v24, v25, v24
	v_fma_f16 v25, v60, s19, -v175
	v_fma_f16 v180, v66, s18, v179
	v_add_f16_e32 v77, v82, v77
	v_sub_f16_e32 v82, v110, v151
	v_add_f16_e32 v75, v79, v75
	v_fma_f16 v79, v61, s22, v72
	v_mul_f16_e32 v76, 0x388b, v76
	v_add_f16_e32 v25, v45, v25
	v_fma_f16 v26, v62, s7, -v177
	v_mul_f16_e32 v122, 0x2fb7, v60
	v_add_f16_e32 v176, v180, v176
	v_mul_f16_e32 v180, 0x3770, v88
	v_add_f16_e32 v77, v82, v77
	v_add_f16_e32 v79, v46, v79
	v_fma_f16 v82, v63, s28, v76
	v_mul_f16_e32 v80, 0x2fb7, v80
	v_add_f16_e32 v25, v26, v25
	v_fma_f16 v26, v64, s6, -v178
	v_mul_f16_e32 v128, 0xbbc4, v62
	v_fma_f16 v181, v68, s21, v180
	v_add_f16_e32 v81, v122, v81
	v_add_f16_e32 v79, v82, v79
	v_fma_f16 v82, v65, s23, v80
	v_add_f16_e32 v25, v26, v25
	v_fma_f16 v26, v66, s18, -v179
	v_mul_f16_e32 v134, 0xb5ac, v64
	v_add_f16_e32 v176, v181, v176
	v_mul_f16_e32 v181, 0xbb7b, v94
	v_add_f16_e32 v81, v45, v81
	v_add_f16_e32 v87, v128, v87
	;; [unrolled: 1-line block ×3, first 2 shown]
	v_mul_f16_e32 v82, 0xb5ac, v86
	v_add_f16_e32 v25, v26, v25
	v_fma_f16 v26, v68, s21, -v180
	v_mul_f16_e32 v140, 0x3b15, v66
	v_add_f16_e32 v81, v87, v81
	v_add_f16_e32 v87, v134, v96
	v_fma_f16 v85, v67, s27, v82
	v_add_f16_e32 v25, v26, v25
	v_fma_f16 v26, v71, s14, -v181
	v_mul_f16_e32 v146, 0x388b, v68
	v_add_f16_e32 v81, v87, v81
	v_add_f16_e32 v87, v140, v103
	;; [unrolled: 1-line block ×3, first 2 shown]
	v_mul_f16_e32 v85, 0xb9fd, v93
	v_add_f16_e32 v12, v13, v12
	v_add_f16_e32 v13, v47, v46
	;; [unrolled: 1-line block ×3, first 2 shown]
	v_fma_f16 v26, v61, s29, v72
	v_mul_f16_e32 v152, 0xb9fd, v71
	v_add_f16_e32 v81, v87, v81
	v_add_f16_e32 v87, v146, v108
	v_fma_f16 v86, v70, s26, v85
	v_add_f16_e32 v13, v48, v13
	v_add_f16_e32 v26, v46, v26
	v_fma_f16 v27, v63, s15, v76
	v_add_f16_e32 v81, v87, v81
	v_add_f16_e32 v87, v152, v114
	;; [unrolled: 1-line block ×3, first 2 shown]
	v_mul_f16_e32 v86, 0xbbc4, v101
	v_add_f16_e32 v13, v49, v13
	v_add_f16_e32 v26, v27, v26
	v_fma_f16 v27, v65, s16, v80
	v_mul_f16_e32 v123, 0xbbf1, v61
	v_add_f16_e32 v81, v87, v81
	v_fma_f16 v87, v73, s25, v86
	v_mul_f16_e32 v69, 0xb770, v69
	v_add_f16_e32 v13, v50, v13
	v_add_f16_e32 v26, v27, v26
	v_fma_f16 v27, v67, s17, v82
	v_mul_f16_e32 v129, 0xb3a8, v63
	v_sub_f16_e32 v84, v84, v123
	v_add_f16_e32 v79, v87, v79
	v_fma_f16 v87, v60, s21, v69
	v_mul_f16_e32 v74, 0xba95, v74
	v_add_f16_e32 v13, v51, v13
	v_add_f16_e32 v26, v27, v26
	v_fma_f16 v27, v70, s24, v85
	v_mul_f16_e32 v135, 0x3b7b, v65
	v_add_f16_e32 v84, v46, v84
	v_sub_f16_e32 v91, v91, v129
	v_add_f16_e32 v87, v45, v87
	v_fma_f16 v89, v62, s6, v74
	v_mul_f16_e32 v78, 0xbbf1, v78
	v_add_f16_e32 v13, v52, v13
	v_add_f16_e32 v26, v27, v26
	v_fma_f16 v27, v73, s20, v86
	v_mul_f16_e32 v124, 0xb5ac, v60
	v_mul_f16_e32 v125, 0xbb7b, v61
	;; [unrolled: 1-line block ×3, first 2 shown]
	v_add_f16_e32 v84, v91, v84
	v_sub_f16_e32 v91, v99, v135
	v_add_f16_e32 v87, v89, v87
	v_fma_f16 v89, v64, s7, v78
	v_mul_f16_e32 v83, 0xbb7b, v83
	v_add_f16_e32 v13, v53, v13
	v_add_f16_e32 v26, v27, v26
	v_fma_f16 v27, v60, s21, -v69
	v_mul_f16_e32 v130, 0xb9fd, v62
	v_mul_f16_e32 v131, 0x394e, v63
	;; [unrolled: 1-line block ×3, first 2 shown]
	v_sub_f16_e32 v95, v95, v125
	v_add_f16_e32 v90, v124, v90
	v_add_f16_e32 v84, v91, v84
	v_sub_f16_e32 v91, v107, v141
	v_add_f16_e32 v87, v89, v87
	v_fma_f16 v89, v66, s14, v83
	v_mul_f16_e32 v88, 0xb94e, v88
	v_add_f16_e32 v13, v54, v13
	v_add_f16_e32 v27, v45, v27
	v_fma_f16 v28, v62, s6, -v74
	v_mul_f16_e32 v136, 0x3b15, v64
	v_mul_f16_e32 v137, 0x3770, v65
	;; [unrolled: 1-line block ×3, first 2 shown]
	v_add_f16_e32 v95, v46, v95
	v_sub_f16_e32 v102, v102, v131
	v_add_f16_e32 v90, v45, v90
	v_add_f16_e32 v98, v130, v98
	;; [unrolled: 1-line block ×3, first 2 shown]
	v_sub_f16_e32 v91, v112, v147
	v_add_f16_e32 v87, v89, v87
	v_fma_f16 v89, v68, s19, v88
	v_add_f16_e32 v13, v55, v13
	v_add_f16_e32 v27, v28, v27
	v_fma_f16 v28, v64, s7, -v78
	v_mul_f16_e32 v142, 0x2fb7, v66
	v_mul_f16_e32 v143, 0xbbf1, v67
	v_add_f16_e32 v95, v102, v95
	v_sub_f16_e32 v102, v109, v137
	v_add_f16_e32 v90, v98, v90
	v_add_f16_e32 v98, v136, v105
	;; [unrolled: 1-line block ×3, first 2 shown]
	v_sub_f16_e32 v91, v116, v153
	v_add_f16_e32 v87, v89, v87
	v_mul_f16_e32 v89, 0xb3a8, v94
	v_add_f16_e32 v13, v43, v13
	v_add_f16_e32 v27, v28, v27
	v_fma_f16 v28, v66, s14, -v83
	v_mul_f16_e32 v148, 0xbbc4, v68
	v_mul_f16_e32 v149, 0x33a8, v70
	v_fma_f16 v182, v71, s14, v181
	v_add_f16_e32 v95, v102, v95
	v_sub_f16_e32 v102, v113, v143
	v_add_f16_e32 v90, v98, v90
	v_add_f16_e32 v98, v142, v111
	;; [unrolled: 1-line block ×3, first 2 shown]
	v_fma_f16 v91, v71, s18, v89
	v_add_f16_e32 v13, v44, v13
	v_add_f16_e32 v27, v28, v27
	v_fma_f16 v28, v68, s19, -v88
	v_add_f16_e32 v176, v182, v176
	v_mul_f16_e32 v182, 0x388b, v71
	v_mul_f16_e32 v125, 0x3a95, v73
	v_add_f16_e32 v95, v102, v95
	v_sub_f16_e32 v102, v117, v149
	v_add_f16_e32 v90, v98, v90
	v_add_f16_e32 v98, v148, v115
	;; [unrolled: 1-line block ×5, first 2 shown]
	v_fma_f16 v28, v71, s18, -v89
	v_add_f16_e32 v95, v102, v95
	v_sub_f16_e32 v102, v119, v125
	v_add_f16_e32 v90, v98, v90
	v_add_f16_e32 v98, v182, v118
	;; [unrolled: 1-line block ×3, first 2 shown]
	v_lshl_add_u32 v28, v35, 2, v11
	v_pack_b32_f16 v29, v87, v79
	v_pack_b32_f16 v12, v12, v13
	v_add_f16_e32 v95, v102, v95
	v_add_f16_e32 v90, v98, v90
	ds_write2_b32 v28, v12, v29 offset1:1
	v_pack_b32_f16 v12, v81, v84
	v_pack_b32_f16 v13, v75, v77
	ds_write2_b32 v28, v13, v12 offset0:2 offset1:3
	v_pack_b32_f16 v12, v90, v95
	v_pack_b32_f16 v13, v176, v169
	ds_write2_b32 v28, v12, v13 offset0:4 offset1:5
	v_pack_b32_f16 v12, v23, v22
	v_pack_b32_f16 v13, v162, v155
	s_mov_b32 s6, 0x5040100
	ds_write2_b32 v28, v13, v12 offset0:6 offset1:7
	v_pack_b32_f16 v12, v25, v24
	v_perm_b32 v13, v58, v56, s6
	ds_write2_b32 v28, v12, v13 offset0:8 offset1:9
	v_perm_b32 v12, v57, v33, s6
	v_perm_b32 v13, v59, v32, s6
	ds_write2_b32 v28, v13, v12 offset0:10 offset1:11
	v_pack_b32_f16 v12, v27, v26
	ds_write_b32 v28, v12 offset:48
.LBB0_17:
	s_or_b64 exec, exec, s[4:5]
	v_add_u32_e32 v24, 0x400, v37
	s_waitcnt lgkmcnt(0)
	s_barrier
	ds_read2_b32 v[22:23], v37 offset1:39
	ds_read2_b32 v[12:13], v37 offset0:78 offset1:130
	ds_read2_b32 v[26:27], v24 offset0:4 offset1:43
	;; [unrolled: 1-line block ×3, first 2 shown]
	ds_read_b32 v28, v37 offset:1352
	s_and_saveexec_b64 s[4:5], s[0:1]
	s_cbranch_execz .LBB0_19
; %bb.18:
	v_add_u32_e32 v29, 0x200, v37
	ds_read_b32 v56, v37 offset:468
	ds_read2_b32 v[32:33], v29 offset0:119 offset1:249
	s_waitcnt lgkmcnt(1)
	v_lshrrev_b32_e32 v58, 16, v56
	s_waitcnt lgkmcnt(0)
	v_lshrrev_b32_e32 v59, 16, v32
	v_lshrrev_b32_e32 v57, 16, v33
.LBB0_19:
	s_or_b64 exec, exec, s[4:5]
	s_waitcnt lgkmcnt(3)
	v_lshrrev_b32_e32 v30, 16, v13
	v_mul_f16_sdwa v47, v16, v30 dst_sel:DWORD dst_unused:UNUSED_PAD src0_sel:WORD_1 src1_sel:DWORD
	s_waitcnt lgkmcnt(2)
	v_lshrrev_b32_e32 v31, 16, v26
	v_fma_f16 v47, v16, v13, v47
	v_mul_f16_sdwa v13, v16, v13 dst_sel:DWORD dst_unused:UNUSED_PAD src0_sel:WORD_1 src1_sel:DWORD
	v_fma_f16 v13, v16, v30, -v13
	v_mul_f16_sdwa v16, v17, v31 dst_sel:DWORD dst_unused:UNUSED_PAD src0_sel:WORD_1 src1_sel:DWORD
	s_waitcnt lgkmcnt(1)
	v_lshrrev_b32_e32 v36, 16, v24
	v_fma_f16 v16, v17, v26, v16
	v_mul_f16_sdwa v26, v17, v26 dst_sel:DWORD dst_unused:UNUSED_PAD src0_sel:WORD_1 src1_sel:DWORD
	v_fma_f16 v17, v17, v31, -v26
	v_mul_f16_sdwa v26, v20, v36 dst_sel:DWORD dst_unused:UNUSED_PAD src0_sel:WORD_1 src1_sel:DWORD
	v_lshrrev_b32_e32 v43, 16, v27
	v_fma_f16 v26, v20, v24, v26
	v_mul_f16_sdwa v24, v20, v24 dst_sel:DWORD dst_unused:UNUSED_PAD src0_sel:WORD_1 src1_sel:DWORD
	v_fma_f16 v20, v20, v36, -v24
	v_mul_f16_sdwa v24, v21, v43 dst_sel:DWORD dst_unused:UNUSED_PAD src0_sel:WORD_1 src1_sel:DWORD
	;; [unrolled: 5-line block ×3, first 2 shown]
	s_waitcnt lgkmcnt(0)
	v_lshrrev_b32_e32 v46, 16, v28
	v_fma_f16 v27, v18, v25, v27
	v_mul_f16_sdwa v25, v18, v25 dst_sel:DWORD dst_unused:UNUSED_PAD src0_sel:WORD_1 src1_sel:DWORD
	v_fma_f16 v18, v18, v45, -v25
	v_mul_f16_sdwa v25, v19, v46 dst_sel:DWORD dst_unused:UNUSED_PAD src0_sel:WORD_1 src1_sel:DWORD
	v_fma_f16 v25, v19, v28, v25
	v_mul_f16_sdwa v28, v19, v28 dst_sel:DWORD dst_unused:UNUSED_PAD src0_sel:WORD_1 src1_sel:DWORD
	v_add_f16_e32 v30, v47, v16
	v_lshrrev_b32_e32 v29, 16, v22
	v_fma_f16 v19, v19, v46, -v28
	v_add_f16_e32 v28, v22, v47
	v_fma_f16 v22, v30, -0.5, v22
	v_sub_f16_e32 v30, v13, v17
	s_mov_b32 s6, 0xbaee
	s_movk_i32 s7, 0x3aee
	v_fma_f16 v31, v30, s6, v22
	v_fma_f16 v22, v30, s7, v22
	v_add_f16_e32 v30, v29, v13
	v_add_f16_e32 v13, v13, v17
	;; [unrolled: 1-line block ×3, first 2 shown]
	v_fma_f16 v13, v13, -0.5, v29
	v_sub_f16_e32 v16, v47, v16
	v_add_f16_e32 v29, v26, v24
	v_lshrrev_b32_e32 v35, 16, v23
	v_add_f16_e32 v30, v30, v17
	v_fma_f16 v17, v16, s7, v13
	v_fma_f16 v13, v16, s6, v13
	v_add_f16_e32 v16, v23, v26
	v_fma_f16 v23, v29, -0.5, v23
	v_sub_f16_e32 v29, v20, v21
	v_fma_f16 v36, v29, s6, v23
	v_fma_f16 v23, v29, s7, v23
	v_add_f16_e32 v29, v35, v20
	v_add_f16_e32 v20, v20, v21
	;; [unrolled: 1-line block ×3, first 2 shown]
	v_fma_f16 v20, v20, -0.5, v35
	v_sub_f16_e32 v21, v26, v24
	v_add_f16_e32 v26, v27, v25
	v_lshrrev_b32_e32 v44, 16, v12
	v_add_f16_e32 v16, v16, v24
	v_fma_f16 v24, v21, s7, v20
	v_fma_f16 v20, v21, s6, v20
	v_add_f16_e32 v21, v12, v27
	v_fma_f16 v12, v26, -0.5, v12
	v_sub_f16_e32 v26, v18, v19
	v_fma_f16 v35, v26, s6, v12
	v_fma_f16 v12, v26, s7, v12
	v_add_f16_e32 v26, v44, v18
	v_add_f16_e32 v18, v18, v19
	v_add_f16_e32 v26, v26, v19
	v_fma_f16 v18, v18, -0.5, v44
	v_sub_f16_e32 v19, v27, v25
	v_pack_b32_f16 v13, v22, v13
	v_add_f16_e32 v21, v21, v25
	v_fma_f16 v25, v19, s7, v18
	v_fma_f16 v18, v19, s6, v18
	s_barrier
	v_pack_b32_f16 v19, v28, v30
	v_pack_b32_f16 v17, v31, v17
	ds_write_b32 v40, v13 offset:104
	v_pack_b32_f16 v13, v16, v29
	v_pack_b32_f16 v16, v36, v24
	ds_write2_b32 v40, v19, v17 offset1:13
	ds_write2_b32 v41, v13, v16 offset1:13
	v_pack_b32_f16 v13, v23, v20
	ds_write_b32 v41, v13 offset:104
	v_pack_b32_f16 v13, v21, v26
	v_pack_b32_f16 v16, v35, v25
	v_pack_b32_f16 v12, v12, v18
	ds_write2_b32 v42, v13, v16 offset1:13
	ds_write_b32 v42, v12 offset:104
	s_and_saveexec_b64 s[4:5], s[0:1]
	s_cbranch_execz .LBB0_21
; %bb.20:
	v_mul_f16_sdwa v12, v14, v32 dst_sel:DWORD dst_unused:UNUSED_PAD src0_sel:WORD_1 src1_sel:DWORD
	v_mul_f16_sdwa v13, v15, v33 dst_sel:DWORD dst_unused:UNUSED_PAD src0_sel:WORD_1 src1_sel:DWORD
	;; [unrolled: 1-line block ×3, first 2 shown]
	v_fma_f16 v12, v14, v59, -v12
	v_fma_f16 v13, v15, v57, -v13
	v_fma_f16 v14, v14, v32, v17
	v_mul_f16_sdwa v17, v15, v57 dst_sel:DWORD dst_unused:UNUSED_PAD src0_sel:WORD_1 src1_sel:DWORD
	v_add_f16_e32 v16, v12, v13
	v_fma_f16 v15, v15, v33, v17
	v_fma_f16 v16, v16, -0.5, v58
	v_sub_f16_e32 v17, v14, v15
	v_add_f16_e32 v19, v14, v15
	v_add_f16_e32 v14, v56, v14
	v_fma_f16 v18, v17, s6, v16
	v_fma_f16 v16, v17, s7, v16
	v_add_f16_e32 v17, v58, v12
	v_fma_f16 v19, v19, -0.5, v56
	v_sub_f16_e32 v12, v12, v13
	v_add_f16_e32 v14, v14, v15
	v_and_b32_e32 v15, 0xff, v38
	v_add_f16_e32 v17, v17, v13
	v_fma_f16 v13, v12, s7, v19
	v_fma_f16 v12, v12, s6, v19
	v_lshl_add_u32 v11, v15, 2, v11
	v_pack_b32_f16 v14, v14, v17
	v_pack_b32_f16 v12, v12, v16
	v_add_u32_e32 v15, 0x400, v11
	ds_write2_b32 v15, v14, v12 offset0:95 offset1:108
	v_pack_b32_f16 v12, v13, v18
	ds_write_b32 v11, v12 offset:1508
.LBB0_21:
	s_or_b64 exec, exec, s[4:5]
	s_waitcnt lgkmcnt(0)
	s_barrier
	ds_read2_b32 v[12:13], v37 offset1:39
	ds_read_b32 v11, v37 offset:312
	ds_read2_b32 v[14:15], v37 offset0:117 offset1:156
	ds_read_b32 v22, v37 offset:1404
	ds_read2_b32 v[16:17], v37 offset0:195 offset1:234
	v_add_u32_e32 v18, 0x400, v37
	s_waitcnt lgkmcnt(4)
	v_lshrrev_b32_e32 v21, 16, v13
	v_mul_f16_sdwa v31, v0, v21 dst_sel:DWORD dst_unused:UNUSED_PAD src0_sel:WORD_1 src1_sel:DWORD
	s_waitcnt lgkmcnt(3)
	v_lshrrev_b32_e32 v23, 16, v11
	v_fma_f16 v31, v0, v13, v31
	v_mul_f16_sdwa v13, v0, v13 dst_sel:DWORD dst_unused:UNUSED_PAD src0_sel:WORD_1 src1_sel:DWORD
	v_fma_f16 v0, v0, v21, -v13
	v_mul_f16_sdwa v13, v1, v23 dst_sel:DWORD dst_unused:UNUSED_PAD src0_sel:WORD_1 src1_sel:DWORD
	s_waitcnt lgkmcnt(2)
	v_lshrrev_b32_e32 v24, 16, v14
	v_fma_f16 v13, v1, v11, v13
	v_mul_f16_sdwa v11, v1, v11 dst_sel:DWORD dst_unused:UNUSED_PAD src0_sel:WORD_1 src1_sel:DWORD
	v_fma_f16 v1, v1, v23, -v11
	v_mul_f16_sdwa v11, v2, v24 dst_sel:DWORD dst_unused:UNUSED_PAD src0_sel:WORD_1 src1_sel:DWORD
	v_lshrrev_b32_e32 v25, 16, v15
	v_fma_f16 v11, v2, v14, v11
	v_mul_f16_sdwa v14, v2, v14 dst_sel:DWORD dst_unused:UNUSED_PAD src0_sel:WORD_1 src1_sel:DWORD
	ds_read2_b32 v[18:19], v18 offset0:17 offset1:56
	v_fma_f16 v2, v2, v24, -v14
	v_mul_f16_sdwa v14, v3, v25 dst_sel:DWORD dst_unused:UNUSED_PAD src0_sel:WORD_1 src1_sel:DWORD
	s_waitcnt lgkmcnt(1)
	v_lshrrev_b32_e32 v26, 16, v16
	v_fma_f16 v14, v3, v15, v14
	v_mul_f16_sdwa v15, v3, v15 dst_sel:DWORD dst_unused:UNUSED_PAD src0_sel:WORD_1 src1_sel:DWORD
	v_fma_f16 v3, v3, v25, -v15
	v_mul_f16_sdwa v15, v4, v26 dst_sel:DWORD dst_unused:UNUSED_PAD src0_sel:WORD_1 src1_sel:DWORD
	v_lshrrev_b32_e32 v27, 16, v17
	v_fma_f16 v15, v4, v16, v15
	v_mul_f16_sdwa v16, v4, v16 dst_sel:DWORD dst_unused:UNUSED_PAD src0_sel:WORD_1 src1_sel:DWORD
	v_fma_f16 v4, v4, v26, -v16
	v_mul_f16_sdwa v16, v5, v27 dst_sel:DWORD dst_unused:UNUSED_PAD src0_sel:WORD_1 src1_sel:DWORD
	s_waitcnt lgkmcnt(0)
	v_lshrrev_b32_e32 v28, 16, v18
	v_fma_f16 v16, v5, v17, v16
	v_mul_f16_sdwa v17, v5, v17 dst_sel:DWORD dst_unused:UNUSED_PAD src0_sel:WORD_1 src1_sel:DWORD
	v_fma_f16 v5, v5, v27, -v17
	v_mul_f16_sdwa v17, v6, v28 dst_sel:DWORD dst_unused:UNUSED_PAD src0_sel:WORD_1 src1_sel:DWORD
	v_lshrrev_b32_e32 v29, 16, v19
	v_fma_f16 v17, v6, v18, v17
	v_mul_f16_sdwa v18, v6, v18 dst_sel:DWORD dst_unused:UNUSED_PAD src0_sel:WORD_1 src1_sel:DWORD
	v_fma_f16 v6, v6, v28, -v18
	v_mul_f16_sdwa v18, v7, v29 dst_sel:DWORD dst_unused:UNUSED_PAD src0_sel:WORD_1 src1_sel:DWORD
	v_fma_f16 v18, v7, v19, v18
	v_mul_f16_sdwa v19, v7, v19 dst_sel:DWORD dst_unused:UNUSED_PAD src0_sel:WORD_1 src1_sel:DWORD
	v_fma_f16 v7, v7, v29, -v19
	v_add_f16_e32 v23, v14, v16
	v_fma_f16 v23, v23, -0.5, v12
	v_sub_f16_e32 v24, v1, v7
	s_mov_b32 s0, 0xbb9c
	s_movk_i32 s5, 0x3b9c
	v_fma_f16 v25, v24, s0, v23
	v_sub_f16_e32 v26, v3, v5
	s_mov_b32 s1, 0xb8b4
	v_sub_f16_e32 v27, v13, v14
	v_sub_f16_e32 v28, v18, v16
	v_fma_f16 v23, v24, s5, v23
	s_movk_i32 s6, 0x38b4
	v_lshrrev_b32_e32 v30, 16, v22
	v_fma_f16 v25, v26, s1, v25
	v_add_f16_e32 v27, v27, v28
	s_movk_i32 s4, 0x34f2
	v_fma_f16 v23, v26, s6, v23
	v_mul_f16_sdwa v19, v39, v30 dst_sel:DWORD dst_unused:UNUSED_PAD src0_sel:WORD_1 src1_sel:DWORD
	v_fma_f16 v25, v27, s4, v25
	v_fma_f16 v23, v27, s4, v23
	v_add_f16_e32 v27, v13, v18
	v_lshrrev_b32_e32 v20, 16, v12
	v_fma_f16 v19, v39, v22, v19
	v_mul_f16_sdwa v21, v39, v22 dst_sel:DWORD dst_unused:UNUSED_PAD src0_sel:WORD_1 src1_sel:DWORD
	v_add_f16_e32 v22, v12, v13
	v_fma_f16 v12, v27, -0.5, v12
	v_add_f16_e32 v22, v22, v14
	v_fma_f16 v27, v26, s5, v12
	v_fma_f16 v12, v26, s0, v12
	v_add_f16_e32 v26, v3, v5
	v_add_f16_e32 v22, v22, v16
	v_sub_f16_e32 v28, v14, v13
	v_sub_f16_e32 v29, v16, v18
	v_fma_f16 v26, v26, -0.5, v20
	v_sub_f16_e32 v13, v13, v18
	v_add_f16_e32 v22, v22, v18
	v_fma_f16 v27, v24, s1, v27
	v_add_f16_e32 v28, v28, v29
	v_fma_f16 v12, v24, s6, v12
	v_fma_f16 v18, v13, s5, v26
	v_sub_f16_e32 v14, v14, v16
	v_fma_f16 v27, v28, s4, v27
	v_fma_f16 v12, v28, s4, v12
	;; [unrolled: 1-line block ×3, first 2 shown]
	v_sub_f16_e32 v18, v1, v3
	v_sub_f16_e32 v28, v7, v5
	v_fma_f16 v26, v13, s0, v26
	v_add_f16_e32 v24, v20, v1
	v_add_f16_e32 v18, v18, v28
	v_fma_f16 v26, v14, s1, v26
	v_add_f16_e32 v24, v24, v3
	v_fma_f16 v16, v18, s4, v16
	v_fma_f16 v18, v18, s4, v26
	v_add_f16_e32 v26, v1, v7
	v_add_f16_e32 v24, v24, v5
	v_fma_f16 v20, v26, -0.5, v20
	v_fma_f16 v21, v39, v30, -v21
	v_add_f16_e32 v24, v24, v7
	v_fma_f16 v26, v14, s0, v20
	v_sub_f16_e32 v1, v3, v1
	v_sub_f16_e32 v3, v5, v7
	v_fma_f16 v5, v14, s5, v20
	v_add_f16_e32 v7, v15, v17
	v_fma_f16 v26, v13, s6, v26
	v_add_f16_e32 v1, v1, v3
	v_fma_f16 v5, v13, s1, v5
	v_fma_f16 v7, v7, -0.5, v31
	v_sub_f16_e32 v13, v2, v21
	v_fma_f16 v3, v1, s4, v26
	v_fma_f16 v14, v13, s0, v7
	v_sub_f16_e32 v20, v4, v6
	v_sub_f16_e32 v26, v11, v15
	v_sub_f16_e32 v28, v19, v17
	v_fma_f16 v7, v13, s5, v7
	v_fma_f16 v14, v20, s1, v14
	v_add_f16_e32 v26, v26, v28
	v_fma_f16 v7, v20, s6, v7
	v_fma_f16 v14, v26, s4, v14
	;; [unrolled: 1-line block ×3, first 2 shown]
	v_add_f16_e32 v26, v11, v19
	v_fma_f16 v1, v1, s4, v5
	v_add_f16_e32 v5, v31, v11
	v_fma_f16 v26, v26, -0.5, v31
	v_add_f16_e32 v5, v5, v15
	v_fma_f16 v28, v20, s5, v26
	v_fma_f16 v20, v20, s0, v26
	v_add_f16_e32 v26, v4, v6
	v_add_f16_e32 v5, v5, v17
	v_sub_f16_e32 v29, v15, v11
	v_sub_f16_e32 v30, v17, v19
	v_fma_f16 v26, v26, -0.5, v0
	v_sub_f16_e32 v11, v11, v19
	v_add_f16_e32 v5, v5, v19
	v_fma_f16 v28, v13, s1, v28
	v_add_f16_e32 v29, v29, v30
	v_fma_f16 v13, v13, s6, v20
	v_fma_f16 v19, v11, s5, v26
	v_sub_f16_e32 v15, v15, v17
	v_fma_f16 v28, v29, s4, v28
	v_fma_f16 v13, v29, s4, v13
	v_fma_f16 v17, v15, s6, v19
	v_sub_f16_e32 v19, v2, v4
	v_sub_f16_e32 v29, v21, v6
	v_fma_f16 v26, v11, s0, v26
	v_add_f16_e32 v19, v19, v29
	v_fma_f16 v26, v15, s1, v26
	v_fma_f16 v17, v19, s4, v17
	;; [unrolled: 1-line block ×3, first 2 shown]
	v_add_f16_e32 v26, v2, v21
	v_add_f16_e32 v20, v0, v2
	v_fma_f16 v0, v26, -0.5, v0
	v_add_f16_e32 v20, v20, v4
	v_fma_f16 v26, v15, s0, v0
	v_sub_f16_e32 v2, v4, v2
	v_sub_f16_e32 v4, v6, v21
	v_fma_f16 v0, v15, s5, v0
	v_fma_f16 v26, v11, s6, v26
	v_add_f16_e32 v2, v2, v4
	v_fma_f16 v0, v11, s1, v0
	v_add_f16_e32 v20, v20, v6
	v_fma_f16 v4, v2, s4, v26
	v_fma_f16 v0, v2, s4, v0
	v_mul_f16_e32 v6, 0xb8b4, v17
	s_movk_i32 s0, 0x3a79
	v_add_f16_e32 v20, v20, v21
	v_fma_f16 v6, v14, s0, v6
	v_mul_f16_e32 v15, 0xbb9c, v4
	v_mul_f16_e32 v26, 0xbb9c, v0
	s_mov_b32 s0, 0xb4f2
	v_mul_f16_e32 v17, 0x3a79, v17
	v_mul_f16_e32 v4, 0x34f2, v4
	v_add_f16_e32 v2, v22, v5
	v_fma_f16 v15, v28, s4, v15
	v_fma_f16 v26, v13, s0, v26
	v_mul_f16_e32 v30, 0xb8b4, v19
	s_mov_b32 s0, 0xba79
	v_add_f16_e32 v32, v24, v20
	v_fma_f16 v14, v14, s6, v17
	v_fma_f16 v4, v28, s5, v4
	v_mul_f16_e32 v0, 0xb4f2, v0
	v_mul_f16_e32 v19, 0xba79, v19
	v_add_f16_e32 v11, v25, v6
	v_add_f16_e32 v21, v27, v15
	v_fma_f16 v30, v7, s0, v30
	v_add_f16_e32 v17, v16, v14
	v_add_f16_e32 v28, v3, v4
	v_fma_f16 v0, v13, s5, v0
	v_fma_f16 v7, v7, s6, v19
	v_pack_b32_f16 v2, v2, v32
	v_add_f16_e32 v29, v12, v26
	v_add_f16_e32 v31, v23, v30
	;; [unrolled: 1-line block ×4, first 2 shown]
	v_sub_f16_e32 v3, v3, v4
	ds_write_b32 v34, v2
	v_pack_b32_f16 v2, v11, v17
	v_pack_b32_f16 v4, v21, v28
	v_sub_f16_e32 v5, v22, v5
	v_sub_f16_e32 v6, v25, v6
	;; [unrolled: 1-line block ×4, first 2 shown]
	ds_write2_b32 v34, v2, v4 offset0:39 offset1:78
	v_pack_b32_f16 v2, v29, v13
	v_pack_b32_f16 v4, v31, v19
	v_sub_f16_e32 v15, v27, v15
	v_sub_f16_e32 v12, v12, v26
	;; [unrolled: 1-line block ×3, first 2 shown]
	ds_write2_b32 v34, v2, v4 offset0:117 offset1:156
	v_pack_b32_f16 v2, v5, v20
	v_pack_b32_f16 v4, v6, v14
	v_sub_f16_e32 v22, v23, v30
	v_sub_f16_e32 v1, v18, v7
	ds_write2_b32 v34, v2, v4 offset0:195 offset1:234
	v_pack_b32_f16 v2, v15, v3
	v_pack_b32_f16 v0, v12, v0
	v_add_u32_e32 v5, 0x400, v34
	ds_write2_b32 v5, v2, v0 offset0:17 offset1:56
	v_pack_b32_f16 v0, v22, v1
	ds_write_b32 v34, v0 offset:1404
	s_waitcnt lgkmcnt(0)
	s_barrier
	s_and_b64 exec, exec, vcc
	s_cbranch_execz .LBB0_23
; %bb.22:
	global_load_dword v14, v9, s[12:13]
	ds_read_b32 v17, v34
	global_load_dword v6, v9, s[12:13] offset:120
	global_load_dword v11, v9, s[12:13] offset:240
	;; [unrolled: 1-line block ×7, first 2 shown]
	v_mad_u64_u32 v[2:3], s[0:1], s10, v10, 0
	v_mov_b32_e32 v18, v3
	s_waitcnt lgkmcnt(0)
	v_lshrrev_b32_e32 v3, 16, v17
	s_mov_b32 s6, 0x15015015
	s_mov_b32 s7, 0x3f650150
	s_movk_i32 s10, 0x1ff
	s_movk_i32 s14, 0xffe
	s_mov_b32 s16, 0x8000
	v_mov_b32_e32 v0, s2
	v_mov_b32_e32 v1, s3
	v_mov_b32_e32 v4, 0x7c00
	s_movk_i32 s15, 0x40f
	s_waitcnt vmcnt(7)
	v_mul_f16_sdwa v19, v3, v14 dst_sel:DWORD dst_unused:UNUSED_PAD src0_sel:DWORD src1_sel:WORD_1
	v_mul_f16_sdwa v20, v17, v14 dst_sel:DWORD dst_unused:UNUSED_PAD src0_sel:DWORD src1_sel:WORD_1
	v_fma_f16 v17, v17, v14, v19
	v_fma_f16 v3, v14, v3, -v20
	v_cvt_f32_f16_e32 v14, v17
	v_cvt_f32_f16_e32 v17, v3
	v_mad_u64_u32 v[18:19], s[0:1], s11, v10, v[18:19]
	v_mov_b32_e32 v3, v18
	v_cvt_f64_f32_e32 v[18:19], v14
	v_cvt_f64_f32_e32 v[20:21], v17
	v_mul_f64 v[18:19], v[18:19], s[6:7]
	v_mul_f64 v[20:21], v[20:21], s[6:7]
	v_and_or_b32 v10, v19, s10, v18
	v_and_or_b32 v18, v21, s10, v20
	v_cmp_ne_u32_e32 vcc, 0, v10
	v_lshrrev_b32_e32 v14, 8, v19
	v_bfe_u32 v17, v19, 20, 11
	v_cndmask_b32_e64 v10, 0, 1, vcc
	v_cmp_ne_u32_e32 vcc, 0, v18
	v_and_b32_sdwa v24, v19, s16 dst_sel:DWORD dst_unused:UNUSED_PAD src0_sel:WORD_1 src1_sel:DWORD
	v_lshrrev_b32_e32 v19, 8, v21
	v_bfe_u32 v20, v21, 20, 11
	v_sub_u32_e32 v22, 0x3f1, v17
	v_cndmask_b32_e64 v18, 0, 1, vcc
	v_and_or_b32 v10, v14, s14, v10
	v_sub_u32_e32 v23, 0x3f1, v20
	v_med3_i32 v14, v22, 0, 13
	v_and_or_b32 v18, v19, s14, v18
	v_or_b32_e32 v22, 0x1000, v10
	v_add_u32_e32 v17, 0xfffffc10, v17
	v_med3_i32 v19, v23, 0, 13
	v_cmp_ne_u32_e32 vcc, 0, v10
	v_or_b32_e32 v25, 0x1000, v18
	v_lshrrev_b32_e32 v27, v14, v22
	v_add_u32_e32 v20, 0xfffffc10, v20
	v_lshl_or_b32 v23, v17, 12, v10
	v_cndmask_b32_e64 v10, 0, 1, vcc
	v_cmp_ne_u32_e32 vcc, 0, v18
	v_lshrrev_b32_e32 v28, v19, v25
	v_lshlrev_b32_e32 v14, v14, v27
	v_lshl_or_b32 v26, v20, 12, v18
	v_cndmask_b32_e64 v18, 0, 1, vcc
	v_lshlrev_b32_e32 v19, v19, v28
	v_cmp_ne_u32_e32 vcc, v14, v22
	v_lshl_or_b32 v10, v10, 9, v4
	v_lshl_or_b32 v18, v18, 9, v4
	v_cndmask_b32_e64 v14, 0, 1, vcc
	v_cmp_ne_u32_e32 vcc, v19, v25
	v_or_b32_e32 v14, v27, v14
	v_lshrrev_b32_e32 v21, 16, v21
	v_cndmask_b32_e64 v19, 0, 1, vcc
	v_cmp_gt_i32_e32 vcc, 1, v17
	v_or_b32_e32 v19, v28, v19
	v_lshl_add_u64 v[0:1], v[2:3], 2, v[0:1]
	v_cndmask_b32_e32 v14, v23, v14, vcc
	v_cmp_gt_i32_e32 vcc, 1, v20
	v_and_b32_e32 v22, 7, v14
	v_cmp_eq_u32_e64 s[0:1], 3, v22
	v_cndmask_b32_e32 v19, v26, v19, vcc
	v_cmp_lt_i32_e32 vcc, 5, v22
	v_lshrrev_b32_e32 v14, 2, v14
	v_and_b32_e32 v23, 7, v19
	s_or_b64 vcc, s[0:1], vcc
	v_cmp_lt_i32_e64 s[2:3], 5, v23
	v_cmp_eq_u32_e64 s[4:5], 3, v23
	v_addc_co_u32_e32 v14, vcc, 0, v14, vcc
	v_lshrrev_b32_e32 v19, 2, v19
	s_or_b64 vcc, s[4:5], s[2:3]
	v_addc_co_u32_e32 v19, vcc, 0, v19, vcc
	v_cmp_gt_i32_e32 vcc, 31, v17
	ds_read2_b32 v[22:23], v34 offset0:30 offset1:60
	s_mov_b32 s2, 0xffff
	v_cndmask_b32_e32 v14, v4, v14, vcc
	v_cmp_gt_i32_e32 vcc, 31, v20
	s_mul_i32 s3, s9, 0x78
	s_nop 0
	v_cndmask_b32_e32 v19, v4, v19, vcc
	v_cmp_eq_u32_e32 vcc, s15, v17
	s_nop 1
	v_cndmask_b32_e32 v14, v14, v10, vcc
	v_cmp_eq_u32_e32 vcc, s15, v20
	s_nop 1
	v_cndmask_b32_e32 v10, v19, v18, vcc
	v_mad_u64_u32 v[18:19], s[0:1], s8, v8, 0
	v_and_or_b32 v17, v21, s16, v10
	v_mov_b32_e32 v10, v19
	s_waitcnt vmcnt(5)
	v_mad_u64_u32 v[20:21], s[0:1], s9, v8, v[10:11]
	s_waitcnt lgkmcnt(0)
	v_lshrrev_b32_e32 v10, 16, v22
	v_bitop3_b32 v8, v24, s2, v14 bitop3:0xc8
	v_mul_f16_sdwa v14, v10, v6 dst_sel:DWORD dst_unused:UNUSED_PAD src0_sel:DWORD src1_sel:WORD_1
	v_fma_f16 v14, v22, v6, v14
	v_cvt_f32_f16_e32 v14, v14
	v_mov_b32_e32 v19, v20
	v_lshl_or_b32 v8, v17, 16, v8
	v_lshl_add_u64 v[0:1], v[18:19], 2, v[0:1]
	v_cvt_f64_f32_e32 v[2:3], v14
	v_mul_f64 v[2:3], v[2:3], s[6:7]
	v_and_or_b32 v2, v3, s10, v2
	v_cmp_ne_u32_e32 vcc, 0, v2
	global_store_dword v[0:1], v8, off
	v_lshrrev_b32_e32 v8, 8, v3
	v_cndmask_b32_e64 v2, 0, 1, vcc
	v_bfe_u32 v14, v3, 20, 11
	v_and_or_b32 v2, v8, s14, v2
	v_sub_u32_e32 v17, 0x3f1, v14
	v_or_b32_e32 v8, 0x1000, v2
	v_med3_i32 v17, v17, 0, 13
	v_lshrrev_b32_e32 v18, v17, v8
	v_lshlrev_b32_e32 v17, v17, v18
	v_cmp_ne_u32_e32 vcc, v17, v8
	v_add_u32_e32 v14, 0xfffffc10, v14
	v_lshl_or_b32 v17, v14, 12, v2
	v_cndmask_b32_e64 v8, 0, 1, vcc
	v_or_b32_e32 v8, v18, v8
	v_cmp_gt_i32_e32 vcc, 1, v14
	s_nop 1
	v_cndmask_b32_e32 v8, v17, v8, vcc
	v_and_b32_e32 v17, 7, v8
	v_cmp_lt_i32_e32 vcc, 5, v17
	v_cmp_eq_u32_e64 s[0:1], 3, v17
	v_lshrrev_b32_e32 v8, 2, v8
	s_or_b64 vcc, s[0:1], vcc
	v_mul_f16_sdwa v17, v22, v6 dst_sel:DWORD dst_unused:UNUSED_PAD src0_sel:DWORD src1_sel:WORD_1
	v_addc_co_u32_e32 v8, vcc, 0, v8, vcc
	v_fma_f16 v6, v6, v10, -v17
	v_cmp_gt_i32_e32 vcc, 31, v14
	v_cvt_f32_f16_e32 v6, v6
	v_and_b32_sdwa v10, v3, s16 dst_sel:DWORD dst_unused:UNUSED_PAD src0_sel:WORD_1 src1_sel:DWORD
	v_cndmask_b32_e32 v8, v4, v8, vcc
	v_cmp_ne_u32_e32 vcc, 0, v2
	s_nop 1
	v_cndmask_b32_e64 v2, 0, 1, vcc
	v_lshl_or_b32 v2, v2, 9, v4
	v_cmp_eq_u32_e32 vcc, s15, v14
	s_nop 1
	v_cndmask_b32_e32 v8, v8, v2, vcc
	v_cvt_f64_f32_e32 v[2:3], v6
	v_mul_f64 v[2:3], v[2:3], s[6:7]
	v_and_or_b32 v2, v3, s10, v2
	v_cmp_ne_u32_e32 vcc, 0, v2
	v_lshrrev_b32_e32 v6, 8, v3
	v_bfe_u32 v14, v3, 20, 11
	v_cndmask_b32_e64 v2, 0, 1, vcc
	v_and_or_b32 v2, v6, s14, v2
	v_sub_u32_e32 v17, 0x3f1, v14
	v_or_b32_e32 v6, 0x1000, v2
	v_med3_i32 v17, v17, 0, 13
	v_lshrrev_b32_e32 v18, v17, v6
	v_lshlrev_b32_e32 v17, v17, v18
	v_cmp_ne_u32_e32 vcc, v17, v6
	v_add_u32_e32 v14, 0xfffffc10, v14
	v_lshl_or_b32 v17, v14, 12, v2
	v_cndmask_b32_e64 v6, 0, 1, vcc
	v_or_b32_e32 v6, v18, v6
	v_cmp_gt_i32_e32 vcc, 1, v14
	v_lshrrev_b32_e32 v3, 16, v3
	s_nop 0
	v_cndmask_b32_e32 v6, v17, v6, vcc
	v_and_b32_e32 v17, 7, v6
	v_cmp_lt_i32_e32 vcc, 5, v17
	v_cmp_eq_u32_e64 s[0:1], 3, v17
	v_lshrrev_b32_e32 v6, 2, v6
	s_or_b64 vcc, s[0:1], vcc
	v_addc_co_u32_e32 v6, vcc, 0, v6, vcc
	v_cmp_gt_i32_e32 vcc, 31, v14
	s_nop 1
	v_cndmask_b32_e32 v6, v4, v6, vcc
	v_cmp_ne_u32_e32 vcc, 0, v2
	s_nop 1
	v_cndmask_b32_e64 v2, 0, 1, vcc
	v_lshl_or_b32 v2, v2, 9, v4
	v_cmp_eq_u32_e32 vcc, s15, v14
	s_nop 1
	v_cndmask_b32_e32 v2, v6, v2, vcc
	v_and_or_b32 v2, v3, s16, v2
	v_bitop3_b32 v3, v10, s2, v8 bitop3:0xc8
	v_lshrrev_b32_e32 v8, 16, v23
	v_lshl_or_b32 v2, v2, 16, v3
	v_mul_f16_sdwa v3, v8, v11 dst_sel:DWORD dst_unused:UNUSED_PAD src0_sel:DWORD src1_sel:WORD_1
	v_fma_f16 v3, v23, v11, v3
	v_cvt_f32_f16_e32 v3, v3
	v_mov_b32_e32 v6, 0x78
	v_mad_u64_u32 v[0:1], s[0:1], s8, v6, v[0:1]
	v_add_u32_e32 v1, s3, v1
	global_store_dword v[0:1], v2, off
	v_cvt_f64_f32_e32 v[2:3], v3
	v_mul_f64 v[2:3], v[2:3], s[6:7]
	v_and_or_b32 v2, v3, s10, v2
	v_cmp_ne_u32_e32 vcc, 0, v2
	v_lshrrev_b32_e32 v10, 8, v3
	v_bfe_u32 v14, v3, 20, 11
	v_cndmask_b32_e64 v2, 0, 1, vcc
	v_and_or_b32 v2, v10, s14, v2
	v_sub_u32_e32 v17, 0x3f1, v14
	v_or_b32_e32 v10, 0x1000, v2
	v_med3_i32 v17, v17, 0, 13
	v_lshrrev_b32_e32 v18, v17, v10
	v_lshlrev_b32_e32 v17, v17, v18
	v_cmp_ne_u32_e32 vcc, v17, v10
	v_add_u32_e32 v14, 0xfffffc10, v14
	v_lshl_or_b32 v17, v14, 12, v2
	v_cndmask_b32_e64 v10, 0, 1, vcc
	v_or_b32_e32 v10, v18, v10
	v_cmp_gt_i32_e32 vcc, 1, v14
	s_nop 1
	v_cndmask_b32_e32 v10, v17, v10, vcc
	v_and_b32_e32 v17, 7, v10
	v_cmp_lt_i32_e32 vcc, 5, v17
	v_cmp_eq_u32_e64 s[0:1], 3, v17
	v_lshrrev_b32_e32 v10, 2, v10
	s_or_b64 vcc, s[0:1], vcc
	v_mul_f16_sdwa v17, v23, v11 dst_sel:DWORD dst_unused:UNUSED_PAD src0_sel:DWORD src1_sel:WORD_1
	v_addc_co_u32_e32 v10, vcc, 0, v10, vcc
	v_fma_f16 v8, v11, v8, -v17
	v_cmp_gt_i32_e32 vcc, 31, v14
	v_cvt_f32_f16_e32 v8, v8
	v_and_b32_sdwa v17, v3, s16 dst_sel:DWORD dst_unused:UNUSED_PAD src0_sel:WORD_1 src1_sel:DWORD
	v_cndmask_b32_e32 v10, v4, v10, vcc
	v_cmp_ne_u32_e32 vcc, 0, v2
	s_nop 1
	v_cndmask_b32_e64 v2, 0, 1, vcc
	v_lshl_or_b32 v2, v2, 9, v4
	v_cmp_eq_u32_e32 vcc, s15, v14
	s_nop 1
	v_cndmask_b32_e32 v14, v10, v2, vcc
	v_cvt_f64_f32_e32 v[2:3], v8
	v_mul_f64 v[2:3], v[2:3], s[6:7]
	v_and_or_b32 v2, v3, s10, v2
	v_cmp_ne_u32_e32 vcc, 0, v2
	v_lshrrev_b32_e32 v8, 8, v3
	v_bfe_u32 v10, v3, 20, 11
	v_cndmask_b32_e64 v2, 0, 1, vcc
	v_and_or_b32 v2, v8, s14, v2
	v_sub_u32_e32 v11, 0x3f1, v10
	v_or_b32_e32 v8, 0x1000, v2
	v_med3_i32 v11, v11, 0, 13
	v_lshrrev_b32_e32 v18, v11, v8
	v_lshlrev_b32_e32 v11, v11, v18
	v_cmp_ne_u32_e32 vcc, v11, v8
	v_add_u32_e32 v10, 0xfffffc10, v10
	v_lshl_or_b32 v11, v10, 12, v2
	v_cndmask_b32_e64 v8, 0, 1, vcc
	v_or_b32_e32 v8, v18, v8
	v_cmp_gt_i32_e32 vcc, 1, v10
	v_lshrrev_b32_e32 v3, 16, v3
	s_nop 0
	v_cndmask_b32_e32 v8, v11, v8, vcc
	v_and_b32_e32 v11, 7, v8
	v_cmp_lt_i32_e32 vcc, 5, v11
	v_cmp_eq_u32_e64 s[0:1], 3, v11
	v_lshrrev_b32_e32 v8, 2, v8
	s_or_b64 vcc, s[0:1], vcc
	v_addc_co_u32_e32 v8, vcc, 0, v8, vcc
	v_cmp_gt_i32_e32 vcc, 31, v10
	v_mad_u64_u32 v[0:1], s[0:1], s8, v6, v[0:1]
	s_nop 0
	v_cndmask_b32_e32 v8, v4, v8, vcc
	v_cmp_ne_u32_e32 vcc, 0, v2
	v_add_u32_e32 v1, s3, v1
	s_nop 0
	v_cndmask_b32_e64 v2, 0, 1, vcc
	v_cmp_eq_u32_e32 vcc, s15, v10
	ds_read2_b32 v[10:11], v34 offset0:90 offset1:120
	v_lshl_or_b32 v2, v2, 9, v4
	v_cndmask_b32_e32 v2, v8, v2, vcc
	v_and_or_b32 v2, v3, s16, v2
	v_bitop3_b32 v3, v17, s2, v14 bitop3:0xc8
	s_waitcnt lgkmcnt(0)
	v_lshrrev_b32_e32 v8, 16, v10
	v_lshl_or_b32 v2, v2, 16, v3
	s_waitcnt vmcnt(6)
	v_mul_f16_sdwa v3, v8, v12 dst_sel:DWORD dst_unused:UNUSED_PAD src0_sel:DWORD src1_sel:WORD_1
	v_fma_f16 v3, v10, v12, v3
	v_cvt_f32_f16_e32 v3, v3
	global_store_dword v[0:1], v2, off
	v_mul_f16_sdwa v10, v10, v12 dst_sel:DWORD dst_unused:UNUSED_PAD src0_sel:DWORD src1_sel:WORD_1
	v_fma_f16 v8, v12, v8, -v10
	v_cvt_f64_f32_e32 v[2:3], v3
	v_mul_f64 v[2:3], v[2:3], s[6:7]
	v_and_or_b32 v2, v3, s10, v2
	v_cmp_ne_u32_e32 vcc, 0, v2
	v_lshrrev_b32_e32 v14, 8, v3
	v_bfe_u32 v17, v3, 20, 11
	v_cndmask_b32_e64 v2, 0, 1, vcc
	v_and_or_b32 v2, v14, s14, v2
	v_sub_u32_e32 v18, 0x3f1, v17
	v_or_b32_e32 v14, 0x1000, v2
	v_med3_i32 v18, v18, 0, 13
	v_lshrrev_b32_e32 v19, v18, v14
	v_lshlrev_b32_e32 v18, v18, v19
	v_cmp_ne_u32_e32 vcc, v18, v14
	v_add_u32_e32 v17, 0xfffffc10, v17
	v_lshl_or_b32 v18, v17, 12, v2
	v_cndmask_b32_e64 v14, 0, 1, vcc
	v_or_b32_e32 v14, v19, v14
	v_cmp_gt_i32_e32 vcc, 1, v17
	v_cvt_f32_f16_e32 v8, v8
	v_and_b32_sdwa v12, v3, s16 dst_sel:DWORD dst_unused:UNUSED_PAD src0_sel:WORD_1 src1_sel:DWORD
	v_cndmask_b32_e32 v14, v18, v14, vcc
	v_and_b32_e32 v18, 7, v14
	v_cmp_lt_i32_e32 vcc, 5, v18
	v_cmp_eq_u32_e64 s[0:1], 3, v18
	v_lshrrev_b32_e32 v14, 2, v14
	s_or_b64 vcc, s[0:1], vcc
	v_addc_co_u32_e32 v14, vcc, 0, v14, vcc
	v_cmp_gt_i32_e32 vcc, 31, v17
	s_nop 1
	v_cndmask_b32_e32 v14, v4, v14, vcc
	v_cmp_ne_u32_e32 vcc, 0, v2
	s_nop 1
	v_cndmask_b32_e64 v2, 0, 1, vcc
	v_lshl_or_b32 v2, v2, 9, v4
	v_cmp_eq_u32_e32 vcc, s15, v17
	s_nop 1
	v_cndmask_b32_e32 v10, v14, v2, vcc
	v_cvt_f64_f32_e32 v[2:3], v8
	v_mul_f64 v[2:3], v[2:3], s[6:7]
	v_and_or_b32 v2, v3, s10, v2
	v_cmp_ne_u32_e32 vcc, 0, v2
	v_lshrrev_b32_e32 v8, 8, v3
	v_bfe_u32 v14, v3, 20, 11
	v_cndmask_b32_e64 v2, 0, 1, vcc
	v_and_or_b32 v2, v8, s14, v2
	v_sub_u32_e32 v17, 0x3f1, v14
	v_or_b32_e32 v8, 0x1000, v2
	v_med3_i32 v17, v17, 0, 13
	v_lshrrev_b32_e32 v18, v17, v8
	v_lshlrev_b32_e32 v17, v17, v18
	v_cmp_ne_u32_e32 vcc, v17, v8
	v_add_u32_e32 v14, 0xfffffc10, v14
	v_lshl_or_b32 v17, v14, 12, v2
	v_cndmask_b32_e64 v8, 0, 1, vcc
	v_or_b32_e32 v8, v18, v8
	v_cmp_gt_i32_e32 vcc, 1, v14
	v_lshrrev_b32_e32 v3, 16, v3
	s_nop 0
	v_cndmask_b32_e32 v8, v17, v8, vcc
	v_and_b32_e32 v17, 7, v8
	v_cmp_lt_i32_e32 vcc, 5, v17
	v_cmp_eq_u32_e64 s[0:1], 3, v17
	v_lshrrev_b32_e32 v8, 2, v8
	s_or_b64 vcc, s[0:1], vcc
	v_addc_co_u32_e32 v8, vcc, 0, v8, vcc
	v_cmp_gt_i32_e32 vcc, 31, v14
	v_mad_u64_u32 v[0:1], s[0:1], s8, v6, v[0:1]
	s_nop 0
	v_cndmask_b32_e32 v8, v4, v8, vcc
	v_cmp_ne_u32_e32 vcc, 0, v2
	v_add_u32_e32 v1, s3, v1
	s_nop 0
	v_cndmask_b32_e64 v2, 0, 1, vcc
	v_lshl_or_b32 v2, v2, 9, v4
	v_cmp_eq_u32_e32 vcc, s15, v14
	s_nop 1
	v_cndmask_b32_e32 v2, v8, v2, vcc
	v_and_or_b32 v2, v3, s16, v2
	v_bitop3_b32 v3, v12, s2, v10 bitop3:0xc8
	v_lshrrev_b32_e32 v8, 16, v11
	v_lshl_or_b32 v2, v2, 16, v3
	s_waitcnt vmcnt(6)
	v_mul_f16_sdwa v3, v8, v13 dst_sel:DWORD dst_unused:UNUSED_PAD src0_sel:DWORD src1_sel:WORD_1
	v_fma_f16 v3, v11, v13, v3
	v_cvt_f32_f16_e32 v3, v3
	global_store_dword v[0:1], v2, off
	v_mul_f16_sdwa v11, v11, v13 dst_sel:DWORD dst_unused:UNUSED_PAD src0_sel:DWORD src1_sel:WORD_1
	v_fma_f16 v8, v13, v8, -v11
	v_cvt_f64_f32_e32 v[2:3], v3
	v_mul_f64 v[2:3], v[2:3], s[6:7]
	v_and_or_b32 v2, v3, s10, v2
	v_cmp_ne_u32_e32 vcc, 0, v2
	v_lshrrev_b32_e32 v10, 8, v3
	v_bfe_u32 v12, v3, 20, 11
	v_cndmask_b32_e64 v2, 0, 1, vcc
	v_and_or_b32 v2, v10, s14, v2
	v_sub_u32_e32 v14, 0x3f1, v12
	v_or_b32_e32 v10, 0x1000, v2
	v_med3_i32 v14, v14, 0, 13
	v_lshrrev_b32_e32 v17, v14, v10
	v_lshlrev_b32_e32 v14, v14, v17
	v_cmp_ne_u32_e32 vcc, v14, v10
	v_add_u32_e32 v12, 0xfffffc10, v12
	v_lshl_or_b32 v14, v12, 12, v2
	v_cndmask_b32_e64 v10, 0, 1, vcc
	v_or_b32_e32 v10, v17, v10
	v_cmp_gt_i32_e32 vcc, 1, v12
	v_cvt_f32_f16_e32 v8, v8
	v_and_b32_sdwa v13, v3, s16 dst_sel:DWORD dst_unused:UNUSED_PAD src0_sel:WORD_1 src1_sel:DWORD
	v_cndmask_b32_e32 v10, v14, v10, vcc
	v_and_b32_e32 v14, 7, v10
	v_cmp_lt_i32_e32 vcc, 5, v14
	v_cmp_eq_u32_e64 s[0:1], 3, v14
	v_lshrrev_b32_e32 v10, 2, v10
	s_or_b64 vcc, s[0:1], vcc
	v_addc_co_u32_e32 v10, vcc, 0, v10, vcc
	v_cmp_gt_i32_e32 vcc, 31, v12
	s_nop 1
	v_cndmask_b32_e32 v10, v4, v10, vcc
	v_cmp_ne_u32_e32 vcc, 0, v2
	s_nop 1
	v_cndmask_b32_e64 v2, 0, 1, vcc
	v_lshl_or_b32 v2, v2, 9, v4
	v_cmp_eq_u32_e32 vcc, s15, v12
	s_nop 1
	v_cndmask_b32_e32 v12, v10, v2, vcc
	v_cvt_f64_f32_e32 v[2:3], v8
	v_mul_f64 v[2:3], v[2:3], s[6:7]
	v_and_or_b32 v2, v3, s10, v2
	v_cmp_ne_u32_e32 vcc, 0, v2
	v_lshrrev_b32_e32 v8, 8, v3
	v_bfe_u32 v10, v3, 20, 11
	v_cndmask_b32_e64 v2, 0, 1, vcc
	v_and_or_b32 v2, v8, s14, v2
	v_sub_u32_e32 v11, 0x3f1, v10
	v_or_b32_e32 v8, 0x1000, v2
	v_med3_i32 v11, v11, 0, 13
	v_lshrrev_b32_e32 v14, v11, v8
	v_lshlrev_b32_e32 v11, v11, v14
	v_cmp_ne_u32_e32 vcc, v11, v8
	v_add_u32_e32 v10, 0xfffffc10, v10
	v_lshl_or_b32 v11, v10, 12, v2
	v_cndmask_b32_e64 v8, 0, 1, vcc
	v_or_b32_e32 v8, v14, v8
	v_cmp_gt_i32_e32 vcc, 1, v10
	v_lshrrev_b32_e32 v3, 16, v3
	s_nop 0
	v_cndmask_b32_e32 v8, v11, v8, vcc
	v_and_b32_e32 v11, 7, v8
	v_cmp_lt_i32_e32 vcc, 5, v11
	v_cmp_eq_u32_e64 s[0:1], 3, v11
	v_lshrrev_b32_e32 v8, 2, v8
	s_or_b64 vcc, s[0:1], vcc
	v_addc_co_u32_e32 v8, vcc, 0, v8, vcc
	v_cmp_gt_i32_e32 vcc, 31, v10
	v_mad_u64_u32 v[0:1], s[0:1], s8, v6, v[0:1]
	s_nop 0
	v_cndmask_b32_e32 v8, v4, v8, vcc
	v_cmp_ne_u32_e32 vcc, 0, v2
	v_add_u32_e32 v1, s3, v1
	s_nop 0
	v_cndmask_b32_e64 v2, 0, 1, vcc
	v_cmp_eq_u32_e32 vcc, s15, v10
	ds_read2_b32 v[10:11], v34 offset0:150 offset1:180
	v_lshl_or_b32 v2, v2, 9, v4
	v_cndmask_b32_e32 v2, v8, v2, vcc
	v_and_or_b32 v2, v3, s16, v2
	v_bitop3_b32 v3, v13, s2, v12 bitop3:0xc8
	s_waitcnt lgkmcnt(0)
	v_lshrrev_b32_e32 v8, 16, v10
	v_lshl_or_b32 v2, v2, 16, v3
	s_waitcnt vmcnt(6)
	v_mul_f16_sdwa v3, v8, v15 dst_sel:DWORD dst_unused:UNUSED_PAD src0_sel:DWORD src1_sel:WORD_1
	v_fma_f16 v3, v10, v15, v3
	v_cvt_f32_f16_e32 v3, v3
	global_store_dword v[0:1], v2, off
	v_mul_f16_sdwa v10, v10, v15 dst_sel:DWORD dst_unused:UNUSED_PAD src0_sel:DWORD src1_sel:WORD_1
	v_fma_f16 v8, v15, v8, -v10
	v_cvt_f64_f32_e32 v[2:3], v3
	v_mul_f64 v[2:3], v[2:3], s[6:7]
	v_and_or_b32 v2, v3, s10, v2
	v_cmp_ne_u32_e32 vcc, 0, v2
	v_lshrrev_b32_e32 v12, 8, v3
	v_bfe_u32 v13, v3, 20, 11
	v_cndmask_b32_e64 v2, 0, 1, vcc
	v_and_or_b32 v2, v12, s14, v2
	v_sub_u32_e32 v14, 0x3f1, v13
	v_or_b32_e32 v12, 0x1000, v2
	v_med3_i32 v14, v14, 0, 13
	v_lshrrev_b32_e32 v17, v14, v12
	v_lshlrev_b32_e32 v14, v14, v17
	v_cmp_ne_u32_e32 vcc, v14, v12
	v_add_u32_e32 v13, 0xfffffc10, v13
	v_lshl_or_b32 v14, v13, 12, v2
	v_cndmask_b32_e64 v12, 0, 1, vcc
	v_or_b32_e32 v12, v17, v12
	v_cmp_gt_i32_e32 vcc, 1, v13
	v_cvt_f32_f16_e32 v8, v8
	s_nop 0
	v_cndmask_b32_e32 v12, v14, v12, vcc
	v_and_b32_e32 v14, 7, v12
	v_cmp_lt_i32_e32 vcc, 5, v14
	v_cmp_eq_u32_e64 s[0:1], 3, v14
	v_lshrrev_b32_e32 v12, 2, v12
	s_or_b64 vcc, s[0:1], vcc
	v_addc_co_u32_e32 v12, vcc, 0, v12, vcc
	v_cmp_gt_i32_e32 vcc, 31, v13
	s_nop 1
	v_cndmask_b32_e32 v12, v4, v12, vcc
	v_cmp_ne_u32_e32 vcc, 0, v2
	s_nop 1
	v_cndmask_b32_e64 v2, 0, 1, vcc
	v_lshl_or_b32 v2, v2, 9, v4
	v_cmp_eq_u32_e32 vcc, s15, v13
	s_nop 1
	v_cndmask_b32_e32 v10, v12, v2, vcc
	v_and_b32_sdwa v12, v3, s16 dst_sel:DWORD dst_unused:UNUSED_PAD src0_sel:WORD_1 src1_sel:DWORD
	v_cvt_f64_f32_e32 v[2:3], v8
	v_mul_f64 v[2:3], v[2:3], s[6:7]
	v_and_or_b32 v2, v3, s10, v2
	v_cmp_ne_u32_e32 vcc, 0, v2
	v_lshrrev_b32_e32 v8, 8, v3
	v_bfe_u32 v13, v3, 20, 11
	v_cndmask_b32_e64 v2, 0, 1, vcc
	v_and_or_b32 v2, v8, s14, v2
	v_sub_u32_e32 v14, 0x3f1, v13
	v_or_b32_e32 v8, 0x1000, v2
	v_med3_i32 v14, v14, 0, 13
	v_lshrrev_b32_e32 v15, v14, v8
	v_lshlrev_b32_e32 v14, v14, v15
	v_cmp_ne_u32_e32 vcc, v14, v8
	v_add_u32_e32 v13, 0xfffffc10, v13
	v_lshl_or_b32 v14, v13, 12, v2
	v_cndmask_b32_e64 v8, 0, 1, vcc
	v_or_b32_e32 v8, v15, v8
	v_cmp_gt_i32_e32 vcc, 1, v13
	v_lshrrev_b32_e32 v3, 16, v3
	s_nop 0
	v_cndmask_b32_e32 v8, v14, v8, vcc
	v_and_b32_e32 v14, 7, v8
	v_cmp_lt_i32_e32 vcc, 5, v14
	v_cmp_eq_u32_e64 s[0:1], 3, v14
	v_lshrrev_b32_e32 v8, 2, v8
	s_or_b64 vcc, s[0:1], vcc
	v_addc_co_u32_e32 v8, vcc, 0, v8, vcc
	v_cmp_gt_i32_e32 vcc, 31, v13
	s_nop 1
	v_cndmask_b32_e32 v8, v4, v8, vcc
	v_cmp_ne_u32_e32 vcc, 0, v2
	s_nop 1
	v_cndmask_b32_e64 v2, 0, 1, vcc
	v_lshl_or_b32 v2, v2, 9, v4
	v_cmp_eq_u32_e32 vcc, s15, v13
	s_nop 1
	v_cndmask_b32_e32 v2, v8, v2, vcc
	v_and_or_b32 v2, v3, s16, v2
	v_bitop3_b32 v3, v12, s2, v10 bitop3:0xc8
	v_lshrrev_b32_e32 v10, 16, v11
	v_lshl_or_b32 v8, v2, 16, v3
	s_waitcnt vmcnt(6)
	v_mul_f16_sdwa v2, v10, v16 dst_sel:DWORD dst_unused:UNUSED_PAD src0_sel:DWORD src1_sel:WORD_1
	v_fma_f16 v2, v11, v16, v2
	v_cvt_f32_f16_e32 v12, v2
	v_mad_u64_u32 v[2:3], s[0:1], s8, v6, v[0:1]
	v_add_u32_e32 v3, s3, v3
	v_cvt_f64_f32_e32 v[0:1], v12
	v_mul_f64 v[0:1], v[0:1], s[6:7]
	v_and_or_b32 v0, v1, s10, v0
	v_cmp_ne_u32_e32 vcc, 0, v0
	global_store_dword v[2:3], v8, off
	v_lshrrev_b32_e32 v8, 8, v1
	v_cndmask_b32_e64 v0, 0, 1, vcc
	v_bfe_u32 v12, v1, 20, 11
	v_and_or_b32 v0, v8, s14, v0
	v_sub_u32_e32 v13, 0x3f1, v12
	v_or_b32_e32 v8, 0x1000, v0
	v_med3_i32 v13, v13, 0, 13
	v_lshrrev_b32_e32 v14, v13, v8
	v_lshlrev_b32_e32 v13, v13, v14
	v_cmp_ne_u32_e32 vcc, v13, v8
	v_add_u32_e32 v12, 0xfffffc10, v12
	v_lshl_or_b32 v13, v12, 12, v0
	v_cndmask_b32_e64 v8, 0, 1, vcc
	v_or_b32_e32 v8, v14, v8
	v_cmp_gt_i32_e32 vcc, 1, v12
	v_mul_f16_sdwa v11, v11, v16 dst_sel:DWORD dst_unused:UNUSED_PAD src0_sel:DWORD src1_sel:WORD_1
	v_fma_f16 v10, v16, v10, -v11
	v_cndmask_b32_e32 v8, v13, v8, vcc
	v_and_b32_e32 v13, 7, v8
	v_cmp_lt_i32_e32 vcc, 5, v13
	v_cmp_eq_u32_e64 s[0:1], 3, v13
	v_lshrrev_b32_e32 v8, 2, v8
	s_or_b64 vcc, s[0:1], vcc
	v_addc_co_u32_e32 v8, vcc, 0, v8, vcc
	v_cmp_gt_i32_e32 vcc, 31, v12
	v_cvt_f32_f16_e32 v10, v10
	s_nop 0
	v_cndmask_b32_e32 v8, v4, v8, vcc
	v_cmp_ne_u32_e32 vcc, 0, v0
	s_nop 1
	v_cndmask_b32_e64 v0, 0, 1, vcc
	v_lshl_or_b32 v0, v0, 9, v4
	v_cmp_eq_u32_e32 vcc, s15, v12
	v_and_b32_sdwa v12, v1, s16 dst_sel:DWORD dst_unused:UNUSED_PAD src0_sel:WORD_1 src1_sel:DWORD
	s_nop 0
	v_cndmask_b32_e32 v8, v8, v0, vcc
	v_cvt_f64_f32_e32 v[0:1], v10
	v_mul_f64 v[10:11], v[0:1], s[6:7]
	v_and_or_b32 v0, v11, s10, v10
	v_cmp_ne_u32_e32 vcc, 0, v0
	v_lshrrev_b32_e32 v1, 8, v11
	v_bfe_u32 v10, v11, 20, 11
	v_cndmask_b32_e64 v0, 0, 1, vcc
	v_and_or_b32 v0, v1, s14, v0
	v_sub_u32_e32 v13, 0x3f1, v10
	v_or_b32_e32 v1, 0x1000, v0
	v_med3_i32 v13, v13, 0, 13
	v_lshrrev_b32_e32 v14, v13, v1
	v_lshlrev_b32_e32 v13, v13, v14
	v_cmp_ne_u32_e32 vcc, v13, v1
	v_add_u32_e32 v10, 0xfffffc10, v10
	v_lshl_or_b32 v13, v10, 12, v0
	v_cndmask_b32_e64 v1, 0, 1, vcc
	v_or_b32_e32 v1, v14, v1
	v_cmp_gt_i32_e32 vcc, 1, v10
	v_lshrrev_b32_e32 v11, 16, v11
	v_bitop3_b32 v8, v12, s2, v8 bitop3:0xc8
	v_cndmask_b32_e32 v1, v13, v1, vcc
	v_and_b32_e32 v13, 7, v1
	v_cmp_lt_i32_e32 vcc, 5, v13
	v_cmp_eq_u32_e64 s[0:1], 3, v13
	v_lshrrev_b32_e32 v1, 2, v1
	s_or_b64 vcc, s[0:1], vcc
	v_addc_co_u32_e32 v1, vcc, 0, v1, vcc
	v_cmp_gt_i32_e32 vcc, 31, v10
	v_mad_u64_u32 v[2:3], s[0:1], s8, v6, v[2:3]
	s_nop 0
	v_cndmask_b32_e32 v1, v4, v1, vcc
	v_cmp_ne_u32_e32 vcc, 0, v0
	v_add_u32_e32 v3, s3, v3
	s_nop 0
	v_cndmask_b32_e64 v0, 0, 1, vcc
	v_lshl_or_b32 v0, v0, 9, v4
	v_cmp_eq_u32_e32 vcc, s15, v10
	s_nop 1
	v_cndmask_b32_e32 v10, v1, v0, vcc
	v_and_or_b32 v10, v11, s16, v10
	v_lshl_or_b32 v8, v10, 16, v8
	global_store_dword v[2:3], v8, off
	global_load_dword v8, v9, s[12:13] offset:960
	ds_read2_b32 v[0:1], v34 offset0:210 offset1:240
	s_waitcnt lgkmcnt(0)
	v_lshrrev_b32_e32 v12, 16, v0
	s_waitcnt vmcnt(8)
	v_mul_f16_sdwa v10, v12, v7 dst_sel:DWORD dst_unused:UNUSED_PAD src0_sel:DWORD src1_sel:WORD_1
	v_fma_f16 v10, v0, v7, v10
	v_cvt_f32_f16_e32 v10, v10
	v_mul_f16_sdwa v0, v0, v7 dst_sel:DWORD dst_unused:UNUSED_PAD src0_sel:DWORD src1_sel:WORD_1
	v_fma_f16 v0, v7, v12, -v0
	v_cvt_f32_f16_e32 v0, v0
	v_cvt_f64_f32_e32 v[10:11], v10
	v_mul_f64 v[10:11], v[10:11], s[6:7]
	v_and_or_b32 v10, v11, s10, v10
	v_cmp_ne_u32_e32 vcc, 0, v10
	v_lshrrev_b32_e32 v13, 8, v11
	v_bfe_u32 v14, v11, 20, 11
	v_cndmask_b32_e64 v10, 0, 1, vcc
	v_and_or_b32 v10, v13, s14, v10
	v_sub_u32_e32 v15, 0x3f1, v14
	v_or_b32_e32 v13, 0x1000, v10
	v_med3_i32 v15, v15, 0, 13
	v_lshrrev_b32_e32 v16, v15, v13
	v_lshlrev_b32_e32 v15, v15, v16
	v_cmp_ne_u32_e32 vcc, v15, v13
	v_add_u32_e32 v14, 0xfffffc10, v14
	v_lshl_or_b32 v15, v14, 12, v10
	v_cndmask_b32_e64 v13, 0, 1, vcc
	v_or_b32_e32 v13, v16, v13
	v_cmp_gt_i32_e32 vcc, 1, v14
	v_and_b32_sdwa v12, v11, s16 dst_sel:DWORD dst_unused:UNUSED_PAD src0_sel:WORD_1 src1_sel:DWORD
	s_nop 0
	v_cndmask_b32_e32 v13, v15, v13, vcc
	v_and_b32_e32 v15, 7, v13
	v_cmp_lt_i32_e32 vcc, 5, v15
	v_cmp_eq_u32_e64 s[0:1], 3, v15
	v_lshrrev_b32_e32 v13, 2, v13
	s_or_b64 vcc, s[0:1], vcc
	v_addc_co_u32_e32 v13, vcc, 0, v13, vcc
	v_cmp_gt_i32_e32 vcc, 31, v14
	s_nop 1
	v_cndmask_b32_e32 v13, v4, v13, vcc
	v_cmp_ne_u32_e32 vcc, 0, v10
	s_nop 1
	v_cndmask_b32_e64 v10, 0, 1, vcc
	v_lshl_or_b32 v10, v10, 9, v4
	v_cmp_eq_u32_e32 vcc, s15, v14
	s_nop 1
	v_cndmask_b32_e32 v7, v13, v10, vcc
	v_cvt_f64_f32_e32 v[10:11], v0
	v_mul_f64 v[10:11], v[10:11], s[6:7]
	v_and_or_b32 v0, v11, s10, v10
	v_cmp_ne_u32_e32 vcc, 0, v0
	v_lshrrev_b32_e32 v10, 8, v11
	v_bfe_u32 v13, v11, 20, 11
	v_cndmask_b32_e64 v0, 0, 1, vcc
	v_and_or_b32 v0, v10, s14, v0
	v_sub_u32_e32 v14, 0x3f1, v13
	v_or_b32_e32 v10, 0x1000, v0
	v_med3_i32 v14, v14, 0, 13
	v_lshrrev_b32_e32 v15, v14, v10
	v_lshlrev_b32_e32 v14, v14, v15
	v_cmp_ne_u32_e32 vcc, v14, v10
	v_add_u32_e32 v13, 0xfffffc10, v13
	v_lshl_or_b32 v14, v13, 12, v0
	v_cndmask_b32_e64 v10, 0, 1, vcc
	v_or_b32_e32 v10, v15, v10
	v_cmp_gt_i32_e32 vcc, 1, v13
	v_bitop3_b32 v7, v12, s2, v7 bitop3:0xc8
	s_nop 0
	v_cndmask_b32_e32 v10, v14, v10, vcc
	v_and_b32_e32 v14, 7, v10
	v_cmp_lt_i32_e32 vcc, 5, v14
	v_cmp_eq_u32_e64 s[0:1], 3, v14
	v_lshrrev_b32_e32 v10, 2, v10
	s_or_b64 vcc, s[0:1], vcc
	v_addc_co_u32_e32 v10, vcc, 0, v10, vcc
	v_cmp_gt_i32_e32 vcc, 31, v13
	v_mad_u64_u32 v[2:3], s[0:1], s8, v6, v[2:3]
	s_nop 0
	v_cndmask_b32_e32 v10, v4, v10, vcc
	v_cmp_ne_u32_e32 vcc, 0, v0
	v_add_u32_e32 v3, s3, v3
	s_nop 0
	v_cndmask_b32_e64 v0, 0, 1, vcc
	v_cmp_eq_u32_e32 vcc, s15, v13
	global_load_dword v12, v9, s[12:13] offset:1080
	global_load_dword v13, v9, s[12:13] offset:1200
	;; [unrolled: 1-line block ×3, first 2 shown]
	v_lshl_or_b32 v0, v0, 9, v4
	v_cndmask_b32_e32 v0, v10, v0, vcc
	v_lshrrev_b32_e32 v10, 16, v11
	v_and_or_b32 v0, v10, s16, v0
	v_lshl_or_b32 v0, v0, 16, v7
	v_lshrrev_b32_e32 v7, 16, v1
	s_waitcnt vmcnt(3)
	v_mul_f16_sdwa v10, v7, v8 dst_sel:DWORD dst_unused:UNUSED_PAD src0_sel:DWORD src1_sel:WORD_1
	v_fma_f16 v10, v1, v8, v10
	v_cvt_f32_f16_e32 v10, v10
	global_store_dword v[2:3], v0, off
	v_mul_f16_sdwa v1, v1, v8 dst_sel:DWORD dst_unused:UNUSED_PAD src0_sel:DWORD src1_sel:WORD_1
	v_fma_f16 v1, v8, v7, -v1
	v_cvt_f64_f32_e32 v[10:11], v10
	v_mul_f64 v[10:11], v[10:11], s[6:7]
	v_and_or_b32 v0, v11, s10, v10
	v_cmp_ne_u32_e32 vcc, 0, v0
	v_lshrrev_b32_e32 v10, 8, v11
	v_bfe_u32 v15, v11, 20, 11
	v_cndmask_b32_e64 v0, 0, 1, vcc
	v_and_or_b32 v0, v10, s14, v0
	v_sub_u32_e32 v16, 0x3f1, v15
	v_or_b32_e32 v10, 0x1000, v0
	v_med3_i32 v16, v16, 0, 13
	v_lshrrev_b32_e32 v17, v16, v10
	v_lshlrev_b32_e32 v16, v16, v17
	v_cmp_ne_u32_e32 vcc, v16, v10
	v_add_u32_e32 v15, 0xfffffc10, v15
	v_lshl_or_b32 v16, v15, 12, v0
	v_cndmask_b32_e64 v10, 0, 1, vcc
	v_or_b32_e32 v10, v17, v10
	v_cmp_gt_i32_e32 vcc, 1, v15
	v_cvt_f32_f16_e32 v1, v1
	v_and_b32_sdwa v8, v11, s16 dst_sel:DWORD dst_unused:UNUSED_PAD src0_sel:WORD_1 src1_sel:DWORD
	v_cndmask_b32_e32 v10, v16, v10, vcc
	v_and_b32_e32 v16, 7, v10
	v_cmp_lt_i32_e32 vcc, 5, v16
	v_cmp_eq_u32_e64 s[0:1], 3, v16
	v_lshrrev_b32_e32 v10, 2, v10
	s_or_b64 vcc, s[0:1], vcc
	v_addc_co_u32_e32 v10, vcc, 0, v10, vcc
	v_cmp_gt_i32_e32 vcc, 31, v15
	s_nop 1
	v_cndmask_b32_e32 v10, v4, v10, vcc
	v_cmp_ne_u32_e32 vcc, 0, v0
	s_nop 1
	v_cndmask_b32_e64 v0, 0, 1, vcc
	v_lshl_or_b32 v0, v0, 9, v4
	v_cmp_eq_u32_e32 vcc, s15, v15
	s_nop 1
	v_cndmask_b32_e32 v7, v10, v0, vcc
	v_cvt_f64_f32_e32 v[0:1], v1
	v_mul_f64 v[0:1], v[0:1], s[6:7]
	v_and_or_b32 v0, v1, s10, v0
	v_cmp_ne_u32_e32 vcc, 0, v0
	v_lshrrev_b32_e32 v10, 8, v1
	v_bfe_u32 v11, v1, 20, 11
	v_cndmask_b32_e64 v0, 0, 1, vcc
	v_and_or_b32 v0, v10, s14, v0
	v_sub_u32_e32 v15, 0x3f1, v11
	v_or_b32_e32 v10, 0x1000, v0
	v_med3_i32 v15, v15, 0, 13
	v_lshrrev_b32_e32 v16, v15, v10
	v_lshlrev_b32_e32 v15, v15, v16
	v_cmp_ne_u32_e32 vcc, v15, v10
	v_add_u32_e32 v11, 0xfffffc10, v11
	v_lshl_or_b32 v15, v11, 12, v0
	v_cndmask_b32_e64 v10, 0, 1, vcc
	v_or_b32_e32 v10, v16, v10
	v_cmp_gt_i32_e32 vcc, 1, v11
	v_lshrrev_b32_e32 v1, 16, v1
	s_nop 0
	v_cndmask_b32_e32 v10, v15, v10, vcc
	v_and_b32_e32 v15, 7, v10
	v_cmp_lt_i32_e32 vcc, 5, v15
	v_cmp_eq_u32_e64 s[0:1], 3, v15
	v_lshrrev_b32_e32 v10, 2, v10
	s_or_b64 vcc, s[0:1], vcc
	v_addc_co_u32_e32 v10, vcc, 0, v10, vcc
	v_cmp_gt_i32_e32 vcc, 31, v11
	s_nop 1
	v_cndmask_b32_e32 v10, v4, v10, vcc
	v_cmp_ne_u32_e32 vcc, 0, v0
	s_nop 1
	v_cndmask_b32_e64 v0, 0, 1, vcc
	v_lshl_or_b32 v0, v0, 9, v4
	v_cmp_eq_u32_e32 vcc, s15, v11
	s_nop 1
	v_cndmask_b32_e32 v0, v10, v0, vcc
	ds_read2_b32 v[10:11], v5 offset0:14 offset1:44
	v_and_or_b32 v0, v1, s16, v0
	v_bitop3_b32 v1, v8, s2, v7 bitop3:0xc8
	v_lshl_or_b32 v7, v0, 16, v1
	s_waitcnt lgkmcnt(0)
	v_lshrrev_b32_e32 v8, 16, v10
	s_waitcnt vmcnt(3)
	v_mul_f16_sdwa v0, v8, v12 dst_sel:DWORD dst_unused:UNUSED_PAD src0_sel:DWORD src1_sel:WORD_1
	v_fma_f16 v0, v10, v12, v0
	v_cvt_f32_f16_e32 v15, v0
	v_mad_u64_u32 v[0:1], s[0:1], s8, v6, v[2:3]
	v_add_u32_e32 v1, s3, v1
	v_cvt_f64_f32_e32 v[2:3], v15
	v_mul_f64 v[2:3], v[2:3], s[6:7]
	v_and_or_b32 v2, v3, s10, v2
	v_cmp_ne_u32_e32 vcc, 0, v2
	global_store_dword v[0:1], v7, off
	v_lshrrev_b32_e32 v7, 8, v3
	v_cndmask_b32_e64 v2, 0, 1, vcc
	v_bfe_u32 v15, v3, 20, 11
	v_and_or_b32 v2, v7, s14, v2
	v_sub_u32_e32 v16, 0x3f1, v15
	v_or_b32_e32 v7, 0x1000, v2
	v_med3_i32 v16, v16, 0, 13
	v_lshrrev_b32_e32 v17, v16, v7
	v_lshlrev_b32_e32 v16, v16, v17
	v_cmp_ne_u32_e32 vcc, v16, v7
	v_add_u32_e32 v15, 0xfffffc10, v15
	v_lshl_or_b32 v16, v15, 12, v2
	v_cndmask_b32_e64 v7, 0, 1, vcc
	v_or_b32_e32 v7, v17, v7
	v_cmp_gt_i32_e32 vcc, 1, v15
	v_mul_f16_sdwa v10, v10, v12 dst_sel:DWORD dst_unused:UNUSED_PAD src0_sel:DWORD src1_sel:WORD_1
	v_fma_f16 v8, v12, v8, -v10
	v_cndmask_b32_e32 v7, v16, v7, vcc
	v_and_b32_e32 v16, 7, v7
	v_cmp_lt_i32_e32 vcc, 5, v16
	v_cmp_eq_u32_e64 s[0:1], 3, v16
	v_lshrrev_b32_e32 v7, 2, v7
	s_or_b64 vcc, s[0:1], vcc
	v_addc_co_u32_e32 v7, vcc, 0, v7, vcc
	v_cmp_gt_i32_e32 vcc, 31, v15
	v_cvt_f32_f16_e32 v8, v8
	v_and_b32_sdwa v10, v3, s16 dst_sel:DWORD dst_unused:UNUSED_PAD src0_sel:WORD_1 src1_sel:DWORD
	v_cndmask_b32_e32 v7, v4, v7, vcc
	v_cmp_ne_u32_e32 vcc, 0, v2
	s_nop 1
	v_cndmask_b32_e64 v2, 0, 1, vcc
	v_lshl_or_b32 v2, v2, 9, v4
	v_cmp_eq_u32_e32 vcc, s15, v15
	s_nop 1
	v_cndmask_b32_e32 v7, v7, v2, vcc
	v_cvt_f64_f32_e32 v[2:3], v8
	v_mul_f64 v[2:3], v[2:3], s[6:7]
	v_and_or_b32 v2, v3, s10, v2
	v_cmp_ne_u32_e32 vcc, 0, v2
	v_lshrrev_b32_e32 v8, 8, v3
	v_bfe_u32 v12, v3, 20, 11
	v_cndmask_b32_e64 v2, 0, 1, vcc
	v_and_or_b32 v2, v8, s14, v2
	v_sub_u32_e32 v15, 0x3f1, v12
	v_or_b32_e32 v8, 0x1000, v2
	v_med3_i32 v15, v15, 0, 13
	v_lshrrev_b32_e32 v16, v15, v8
	v_lshlrev_b32_e32 v15, v15, v16
	v_cmp_ne_u32_e32 vcc, v15, v8
	v_add_u32_e32 v12, 0xfffffc10, v12
	v_lshl_or_b32 v15, v12, 12, v2
	v_cndmask_b32_e64 v8, 0, 1, vcc
	v_or_b32_e32 v8, v16, v8
	v_cmp_gt_i32_e32 vcc, 1, v12
	v_lshrrev_b32_e32 v3, 16, v3
	s_nop 0
	v_cndmask_b32_e32 v8, v15, v8, vcc
	v_and_b32_e32 v15, 7, v8
	v_cmp_lt_i32_e32 vcc, 5, v15
	v_cmp_eq_u32_e64 s[0:1], 3, v15
	v_lshrrev_b32_e32 v8, 2, v8
	s_or_b64 vcc, s[0:1], vcc
	v_addc_co_u32_e32 v8, vcc, 0, v8, vcc
	v_cmp_gt_i32_e32 vcc, 31, v12
	v_mad_u64_u32 v[0:1], s[0:1], s8, v6, v[0:1]
	s_nop 0
	v_cndmask_b32_e32 v8, v4, v8, vcc
	v_cmp_ne_u32_e32 vcc, 0, v2
	v_add_u32_e32 v1, s3, v1
	s_nop 0
	v_cndmask_b32_e64 v2, 0, 1, vcc
	v_lshl_or_b32 v2, v2, 9, v4
	v_cmp_eq_u32_e32 vcc, s15, v12
	s_nop 1
	v_cndmask_b32_e32 v2, v8, v2, vcc
	v_and_or_b32 v2, v3, s16, v2
	v_bitop3_b32 v3, v10, s2, v7 bitop3:0xc8
	v_lshrrev_b32_e32 v7, 16, v11
	v_lshl_or_b32 v2, v2, 16, v3
	s_waitcnt vmcnt(3)
	v_mul_f16_sdwa v3, v7, v13 dst_sel:DWORD dst_unused:UNUSED_PAD src0_sel:DWORD src1_sel:WORD_1
	v_fma_f16 v3, v11, v13, v3
	v_cvt_f32_f16_e32 v3, v3
	global_store_dword v[0:1], v2, off
	v_mul_f16_sdwa v11, v11, v13 dst_sel:DWORD dst_unused:UNUSED_PAD src0_sel:DWORD src1_sel:WORD_1
	v_fma_f16 v7, v13, v7, -v11
	v_cvt_f64_f32_e32 v[2:3], v3
	v_mul_f64 v[2:3], v[2:3], s[6:7]
	v_and_or_b32 v2, v3, s10, v2
	v_cmp_ne_u32_e32 vcc, 0, v2
	v_lshrrev_b32_e32 v8, 8, v3
	v_bfe_u32 v10, v3, 20, 11
	v_cndmask_b32_e64 v2, 0, 1, vcc
	v_and_or_b32 v2, v8, s14, v2
	v_sub_u32_e32 v12, 0x3f1, v10
	v_or_b32_e32 v8, 0x1000, v2
	v_med3_i32 v12, v12, 0, 13
	v_lshrrev_b32_e32 v15, v12, v8
	v_lshlrev_b32_e32 v12, v12, v15
	v_cmp_ne_u32_e32 vcc, v12, v8
	v_add_u32_e32 v10, 0xfffffc10, v10
	v_lshl_or_b32 v12, v10, 12, v2
	v_cndmask_b32_e64 v8, 0, 1, vcc
	v_or_b32_e32 v8, v15, v8
	v_cmp_gt_i32_e32 vcc, 1, v10
	v_cvt_f32_f16_e32 v7, v7
	s_nop 0
	v_cndmask_b32_e32 v8, v12, v8, vcc
	v_and_b32_e32 v12, 7, v8
	v_cmp_lt_i32_e32 vcc, 5, v12
	v_cmp_eq_u32_e64 s[0:1], 3, v12
	v_lshrrev_b32_e32 v8, 2, v8
	s_or_b64 vcc, s[0:1], vcc
	v_addc_co_u32_e32 v8, vcc, 0, v8, vcc
	v_cmp_gt_i32_e32 vcc, 31, v10
	v_and_b32_sdwa v12, v3, s16 dst_sel:DWORD dst_unused:UNUSED_PAD src0_sel:WORD_1 src1_sel:DWORD
	s_nop 0
	v_cndmask_b32_e32 v8, v4, v8, vcc
	v_cmp_ne_u32_e32 vcc, 0, v2
	s_nop 1
	v_cndmask_b32_e64 v2, 0, 1, vcc
	v_lshl_or_b32 v2, v2, 9, v4
	v_cmp_eq_u32_e32 vcc, s15, v10
	s_nop 1
	v_cndmask_b32_e32 v8, v8, v2, vcc
	v_cvt_f64_f32_e32 v[2:3], v7
	v_mul_f64 v[2:3], v[2:3], s[6:7]
	v_and_or_b32 v2, v3, s10, v2
	v_cmp_ne_u32_e32 vcc, 0, v2
	v_lshrrev_b32_e32 v7, 8, v3
	v_bfe_u32 v10, v3, 20, 11
	v_cndmask_b32_e64 v2, 0, 1, vcc
	v_and_or_b32 v2, v7, s14, v2
	v_sub_u32_e32 v11, 0x3f1, v10
	v_or_b32_e32 v7, 0x1000, v2
	v_med3_i32 v11, v11, 0, 13
	v_lshrrev_b32_e32 v13, v11, v7
	v_lshlrev_b32_e32 v11, v11, v13
	v_cmp_ne_u32_e32 vcc, v11, v7
	v_add_u32_e32 v10, 0xfffffc10, v10
	v_lshl_or_b32 v11, v10, 12, v2
	v_cndmask_b32_e64 v7, 0, 1, vcc
	v_or_b32_e32 v7, v13, v7
	v_cmp_gt_i32_e32 vcc, 1, v10
	v_lshrrev_b32_e32 v3, 16, v3
	s_nop 0
	v_cndmask_b32_e32 v7, v11, v7, vcc
	v_and_b32_e32 v11, 7, v7
	v_cmp_lt_i32_e32 vcc, 5, v11
	v_cmp_eq_u32_e64 s[0:1], 3, v11
	v_lshrrev_b32_e32 v7, 2, v7
	s_or_b64 vcc, s[0:1], vcc
	v_addc_co_u32_e32 v7, vcc, 0, v7, vcc
	v_cmp_gt_i32_e32 vcc, 31, v10
	v_mad_u64_u32 v[0:1], s[0:1], s8, v6, v[0:1]
	s_nop 0
	v_cndmask_b32_e32 v7, v4, v7, vcc
	v_cmp_ne_u32_e32 vcc, 0, v2
	v_add_u32_e32 v1, s3, v1
	s_nop 0
	v_cndmask_b32_e64 v2, 0, 1, vcc
	v_cmp_eq_u32_e32 vcc, s15, v10
	ds_read2_b32 v[10:11], v5 offset0:74 offset1:104
	v_lshl_or_b32 v2, v2, 9, v4
	v_cndmask_b32_e32 v2, v7, v2, vcc
	v_and_or_b32 v2, v3, s16, v2
	v_bitop3_b32 v3, v12, s2, v8 bitop3:0xc8
	s_waitcnt lgkmcnt(0)
	v_lshrrev_b32_e32 v5, 16, v10
	v_lshl_or_b32 v2, v2, 16, v3
	s_waitcnt vmcnt(3)
	v_mul_f16_sdwa v3, v5, v14 dst_sel:DWORD dst_unused:UNUSED_PAD src0_sel:DWORD src1_sel:WORD_1
	v_fma_f16 v3, v10, v14, v3
	v_cvt_f32_f16_e32 v3, v3
	global_store_dword v[0:1], v2, off
	v_mul_f16_sdwa v10, v10, v14 dst_sel:DWORD dst_unused:UNUSED_PAD src0_sel:DWORD src1_sel:WORD_1
	v_fma_f16 v5, v14, v5, -v10
	v_cvt_f64_f32_e32 v[2:3], v3
	v_mul_f64 v[2:3], v[2:3], s[6:7]
	v_and_or_b32 v2, v3, s10, v2
	v_cmp_ne_u32_e32 vcc, 0, v2
	v_lshrrev_b32_e32 v7, 8, v3
	v_bfe_u32 v8, v3, 20, 11
	v_cndmask_b32_e64 v2, 0, 1, vcc
	v_and_or_b32 v2, v7, s14, v2
	v_sub_u32_e32 v12, 0x3f1, v8
	v_or_b32_e32 v7, 0x1000, v2
	v_med3_i32 v12, v12, 0, 13
	v_lshrrev_b32_e32 v13, v12, v7
	v_lshlrev_b32_e32 v12, v12, v13
	v_cmp_ne_u32_e32 vcc, v12, v7
	v_add_u32_e32 v8, 0xfffffc10, v8
	v_lshl_or_b32 v12, v8, 12, v2
	v_cndmask_b32_e64 v7, 0, 1, vcc
	v_or_b32_e32 v7, v13, v7
	v_cmp_gt_i32_e32 vcc, 1, v8
	v_cvt_f32_f16_e32 v5, v5
	s_nop 0
	v_cndmask_b32_e32 v7, v12, v7, vcc
	v_and_b32_e32 v12, 7, v7
	v_cmp_lt_i32_e32 vcc, 5, v12
	v_cmp_eq_u32_e64 s[0:1], 3, v12
	v_lshrrev_b32_e32 v7, 2, v7
	s_or_b64 vcc, s[0:1], vcc
	v_addc_co_u32_e32 v7, vcc, 0, v7, vcc
	v_cmp_gt_i32_e32 vcc, 31, v8
	s_nop 1
	v_cndmask_b32_e32 v7, v4, v7, vcc
	v_cmp_ne_u32_e32 vcc, 0, v2
	s_nop 1
	v_cndmask_b32_e64 v2, 0, 1, vcc
	v_lshl_or_b32 v2, v2, 9, v4
	v_cmp_eq_u32_e32 vcc, s15, v8
	v_and_b32_sdwa v8, v3, s16 dst_sel:DWORD dst_unused:UNUSED_PAD src0_sel:WORD_1 src1_sel:DWORD
	s_nop 0
	v_cndmask_b32_e32 v7, v7, v2, vcc
	v_cvt_f64_f32_e32 v[2:3], v5
	v_mul_f64 v[2:3], v[2:3], s[6:7]
	v_and_or_b32 v2, v3, s10, v2
	v_cmp_ne_u32_e32 vcc, 0, v2
	v_lshrrev_b32_e32 v5, 8, v3
	v_bfe_u32 v10, v3, 20, 11
	v_cndmask_b32_e64 v2, 0, 1, vcc
	v_and_or_b32 v2, v5, s14, v2
	v_sub_u32_e32 v12, 0x3f1, v10
	v_or_b32_e32 v5, 0x1000, v2
	v_med3_i32 v12, v12, 0, 13
	v_lshrrev_b32_e32 v13, v12, v5
	v_lshlrev_b32_e32 v12, v12, v13
	v_cmp_ne_u32_e32 vcc, v12, v5
	v_add_u32_e32 v10, 0xfffffc10, v10
	v_lshl_or_b32 v12, v10, 12, v2
	v_cndmask_b32_e64 v5, 0, 1, vcc
	v_or_b32_e32 v5, v13, v5
	v_cmp_gt_i32_e32 vcc, 1, v10
	v_lshrrev_b32_e32 v3, 16, v3
	s_nop 0
	v_cndmask_b32_e32 v5, v12, v5, vcc
	v_and_b32_e32 v12, 7, v5
	v_cmp_lt_i32_e32 vcc, 5, v12
	v_cmp_eq_u32_e64 s[0:1], 3, v12
	v_lshrrev_b32_e32 v5, 2, v5
	s_or_b64 vcc, s[0:1], vcc
	v_addc_co_u32_e32 v5, vcc, 0, v5, vcc
	v_cmp_gt_i32_e32 vcc, 31, v10
	v_mad_u64_u32 v[0:1], s[0:1], s8, v6, v[0:1]
	s_nop 0
	v_cndmask_b32_e32 v5, v4, v5, vcc
	v_cmp_ne_u32_e32 vcc, 0, v2
	v_add_u32_e32 v1, s3, v1
	s_nop 0
	v_cndmask_b32_e64 v2, 0, 1, vcc
	v_lshl_or_b32 v2, v2, 9, v4
	v_cmp_eq_u32_e32 vcc, s15, v10
	s_nop 1
	v_cndmask_b32_e32 v2, v5, v2, vcc
	v_and_or_b32 v2, v3, s16, v2
	v_bitop3_b32 v3, v8, s2, v7 bitop3:0xc8
	v_lshl_or_b32 v2, v2, 16, v3
	global_store_dword v[0:1], v2, off
	global_load_dword v5, v9, s[12:13] offset:1440
	v_lshrrev_b32_e32 v7, 16, v11
	s_waitcnt vmcnt(0)
	v_mul_f16_sdwa v2, v7, v5 dst_sel:DWORD dst_unused:UNUSED_PAD src0_sel:DWORD src1_sel:WORD_1
	v_fma_f16 v2, v11, v5, v2
	v_cvt_f32_f16_e32 v2, v2
	v_cvt_f64_f32_e32 v[2:3], v2
	v_mul_f64 v[2:3], v[2:3], s[6:7]
	v_and_or_b32 v2, v3, s10, v2
	v_cmp_ne_u32_e32 vcc, 0, v2
	v_lshrrev_b32_e32 v8, 8, v3
	v_bfe_u32 v9, v3, 20, 11
	v_cndmask_b32_e64 v2, 0, 1, vcc
	v_and_or_b32 v2, v8, s14, v2
	v_sub_u32_e32 v10, 0x3f1, v9
	v_or_b32_e32 v8, 0x1000, v2
	v_med3_i32 v10, v10, 0, 13
	v_lshrrev_b32_e32 v12, v10, v8
	v_lshlrev_b32_e32 v10, v10, v12
	v_cmp_ne_u32_e32 vcc, v10, v8
	v_add_u32_e32 v9, 0xfffffc10, v9
	v_lshl_or_b32 v10, v9, 12, v2
	v_cndmask_b32_e64 v8, 0, 1, vcc
	v_or_b32_e32 v8, v12, v8
	v_cmp_gt_i32_e32 vcc, 1, v9
	s_nop 1
	v_cndmask_b32_e32 v8, v10, v8, vcc
	v_and_b32_e32 v10, 7, v8
	v_cmp_lt_i32_e32 vcc, 5, v10
	v_cmp_eq_u32_e64 s[0:1], 3, v10
	v_lshrrev_b32_e32 v8, 2, v8
	s_or_b64 vcc, s[0:1], vcc
	v_mul_f16_sdwa v10, v11, v5 dst_sel:DWORD dst_unused:UNUSED_PAD src0_sel:DWORD src1_sel:WORD_1
	v_addc_co_u32_e32 v8, vcc, 0, v8, vcc
	v_fma_f16 v5, v5, v7, -v10
	v_cmp_gt_i32_e32 vcc, 31, v9
	v_cvt_f32_f16_e32 v5, v5
	s_nop 0
	v_cndmask_b32_e32 v8, v4, v8, vcc
	v_cmp_ne_u32_e32 vcc, 0, v2
	s_nop 1
	v_cndmask_b32_e64 v2, 0, 1, vcc
	v_lshl_or_b32 v2, v2, 9, v4
	v_cmp_eq_u32_e32 vcc, s15, v9
	s_nop 1
	v_cndmask_b32_e32 v7, v8, v2, vcc
	v_and_b32_sdwa v8, v3, s16 dst_sel:DWORD dst_unused:UNUSED_PAD src0_sel:WORD_1 src1_sel:DWORD
	v_cvt_f64_f32_e32 v[2:3], v5
	v_mul_f64 v[2:3], v[2:3], s[6:7]
	v_and_or_b32 v2, v3, s10, v2
	v_cmp_ne_u32_e32 vcc, 0, v2
	v_lshrrev_b32_e32 v5, 8, v3
	v_bfe_u32 v9, v3, 20, 11
	v_cndmask_b32_e64 v2, 0, 1, vcc
	v_and_or_b32 v2, v5, s14, v2
	v_sub_u32_e32 v10, 0x3f1, v9
	v_or_b32_e32 v5, 0x1000, v2
	v_med3_i32 v10, v10, 0, 13
	v_lshrrev_b32_e32 v11, v10, v5
	v_lshlrev_b32_e32 v10, v10, v11
	v_cmp_ne_u32_e32 vcc, v10, v5
	v_add_u32_e32 v9, 0xfffffc10, v9
	v_lshl_or_b32 v10, v9, 12, v2
	v_cndmask_b32_e64 v5, 0, 1, vcc
	v_or_b32_e32 v5, v11, v5
	v_cmp_gt_i32_e32 vcc, 1, v9
	v_lshrrev_b32_e32 v3, 16, v3
	s_nop 0
	v_cndmask_b32_e32 v5, v10, v5, vcc
	v_and_b32_e32 v10, 7, v5
	v_cmp_lt_i32_e32 vcc, 5, v10
	v_cmp_eq_u32_e64 s[0:1], 3, v10
	v_lshrrev_b32_e32 v5, 2, v5
	s_or_b64 vcc, s[0:1], vcc
	v_addc_co_u32_e32 v5, vcc, 0, v5, vcc
	v_cmp_gt_i32_e32 vcc, 31, v9
	v_mad_u64_u32 v[0:1], s[0:1], s8, v6, v[0:1]
	s_nop 0
	v_cndmask_b32_e32 v5, v4, v5, vcc
	v_cmp_ne_u32_e32 vcc, 0, v2
	v_add_u32_e32 v1, s3, v1
	s_nop 0
	v_cndmask_b32_e64 v2, 0, 1, vcc
	v_lshl_or_b32 v2, v2, 9, v4
	v_cmp_eq_u32_e32 vcc, s15, v9
	s_nop 1
	v_cndmask_b32_e32 v2, v5, v2, vcc
	v_and_or_b32 v2, v3, s16, v2
	v_bitop3_b32 v3, v8, s2, v7 bitop3:0xc8
	v_lshl_or_b32 v2, v2, 16, v3
	global_store_dword v[0:1], v2, off
.LBB0_23:
	s_endpgm
	.section	.rodata,"a",@progbits
	.p2align	6, 0x0
	.amdhsa_kernel bluestein_single_back_len390_dim1_half_op_CI_CI
		.amdhsa_group_segment_fixed_size 4680
		.amdhsa_private_segment_fixed_size 0
		.amdhsa_kernarg_size 104
		.amdhsa_user_sgpr_count 2
		.amdhsa_user_sgpr_dispatch_ptr 0
		.amdhsa_user_sgpr_queue_ptr 0
		.amdhsa_user_sgpr_kernarg_segment_ptr 1
		.amdhsa_user_sgpr_dispatch_id 0
		.amdhsa_user_sgpr_kernarg_preload_length 0
		.amdhsa_user_sgpr_kernarg_preload_offset 0
		.amdhsa_user_sgpr_private_segment_size 0
		.amdhsa_uses_dynamic_stack 0
		.amdhsa_enable_private_segment 0
		.amdhsa_system_sgpr_workgroup_id_x 1
		.amdhsa_system_sgpr_workgroup_id_y 0
		.amdhsa_system_sgpr_workgroup_id_z 0
		.amdhsa_system_sgpr_workgroup_info 0
		.amdhsa_system_vgpr_workitem_id 0
		.amdhsa_next_free_vgpr 183
		.amdhsa_next_free_sgpr 30
		.amdhsa_accum_offset 184
		.amdhsa_reserve_vcc 1
		.amdhsa_float_round_mode_32 0
		.amdhsa_float_round_mode_16_64 0
		.amdhsa_float_denorm_mode_32 3
		.amdhsa_float_denorm_mode_16_64 3
		.amdhsa_dx10_clamp 1
		.amdhsa_ieee_mode 1
		.amdhsa_fp16_overflow 0
		.amdhsa_tg_split 0
		.amdhsa_exception_fp_ieee_invalid_op 0
		.amdhsa_exception_fp_denorm_src 0
		.amdhsa_exception_fp_ieee_div_zero 0
		.amdhsa_exception_fp_ieee_overflow 0
		.amdhsa_exception_fp_ieee_underflow 0
		.amdhsa_exception_fp_ieee_inexact 0
		.amdhsa_exception_int_div_zero 0
	.end_amdhsa_kernel
	.text
.Lfunc_end0:
	.size	bluestein_single_back_len390_dim1_half_op_CI_CI, .Lfunc_end0-bluestein_single_back_len390_dim1_half_op_CI_CI
                                        ; -- End function
	.section	.AMDGPU.csdata,"",@progbits
; Kernel info:
; codeLenInByte = 20616
; NumSgprs: 36
; NumVgprs: 183
; NumAgprs: 0
; TotalNumVgprs: 183
; ScratchSize: 0
; MemoryBound: 0
; FloatMode: 240
; IeeeMode: 1
; LDSByteSize: 4680 bytes/workgroup (compile time only)
; SGPRBlocks: 4
; VGPRBlocks: 22
; NumSGPRsForWavesPerEU: 36
; NumVGPRsForWavesPerEU: 183
; AccumOffset: 184
; Occupancy: 2
; WaveLimiterHint : 1
; COMPUTE_PGM_RSRC2:SCRATCH_EN: 0
; COMPUTE_PGM_RSRC2:USER_SGPR: 2
; COMPUTE_PGM_RSRC2:TRAP_HANDLER: 0
; COMPUTE_PGM_RSRC2:TGID_X_EN: 1
; COMPUTE_PGM_RSRC2:TGID_Y_EN: 0
; COMPUTE_PGM_RSRC2:TGID_Z_EN: 0
; COMPUTE_PGM_RSRC2:TIDIG_COMP_CNT: 0
; COMPUTE_PGM_RSRC3_GFX90A:ACCUM_OFFSET: 45
; COMPUTE_PGM_RSRC3_GFX90A:TG_SPLIT: 0
	.text
	.p2alignl 6, 3212836864
	.fill 256, 4, 3212836864
	.type	__hip_cuid_72f088557e820241,@object ; @__hip_cuid_72f088557e820241
	.section	.bss,"aw",@nobits
	.globl	__hip_cuid_72f088557e820241
__hip_cuid_72f088557e820241:
	.byte	0                               ; 0x0
	.size	__hip_cuid_72f088557e820241, 1

	.ident	"AMD clang version 19.0.0git (https://github.com/RadeonOpenCompute/llvm-project roc-6.4.0 25133 c7fe45cf4b819c5991fe208aaa96edf142730f1d)"
	.section	".note.GNU-stack","",@progbits
	.addrsig
	.addrsig_sym __hip_cuid_72f088557e820241
	.amdgpu_metadata
---
amdhsa.kernels:
  - .agpr_count:     0
    .args:
      - .actual_access:  read_only
        .address_space:  global
        .offset:         0
        .size:           8
        .value_kind:     global_buffer
      - .actual_access:  read_only
        .address_space:  global
        .offset:         8
        .size:           8
        .value_kind:     global_buffer
      - .actual_access:  read_only
        .address_space:  global
        .offset:         16
        .size:           8
        .value_kind:     global_buffer
      - .actual_access:  read_only
        .address_space:  global
        .offset:         24
        .size:           8
        .value_kind:     global_buffer
      - .actual_access:  read_only
        .address_space:  global
        .offset:         32
        .size:           8
        .value_kind:     global_buffer
      - .offset:         40
        .size:           8
        .value_kind:     by_value
      - .address_space:  global
        .offset:         48
        .size:           8
        .value_kind:     global_buffer
      - .address_space:  global
        .offset:         56
        .size:           8
        .value_kind:     global_buffer
      - .address_space:  global
        .offset:         64
        .size:           8
        .value_kind:     global_buffer
      - .address_space:  global
        .offset:         72
        .size:           8
        .value_kind:     global_buffer
      - .offset:         80
        .size:           4
        .value_kind:     by_value
      - .address_space:  global
        .offset:         88
        .size:           8
        .value_kind:     global_buffer
      - .address_space:  global
        .offset:         96
        .size:           8
        .value_kind:     global_buffer
    .group_segment_fixed_size: 4680
    .kernarg_segment_align: 8
    .kernarg_segment_size: 104
    .language:       OpenCL C
    .language_version:
      - 2
      - 0
    .max_flat_workgroup_size: 117
    .name:           bluestein_single_back_len390_dim1_half_op_CI_CI
    .private_segment_fixed_size: 0
    .sgpr_count:     36
    .sgpr_spill_count: 0
    .symbol:         bluestein_single_back_len390_dim1_half_op_CI_CI.kd
    .uniform_work_group_size: 1
    .uses_dynamic_stack: false
    .vgpr_count:     183
    .vgpr_spill_count: 0
    .wavefront_size: 64
amdhsa.target:   amdgcn-amd-amdhsa--gfx950
amdhsa.version:
  - 1
  - 2
...

	.end_amdgpu_metadata
